;; amdgpu-corpus repo=ROCm/rocFFT kind=compiled arch=gfx1201 opt=O3
	.text
	.amdgcn_target "amdgcn-amd-amdhsa--gfx1201"
	.amdhsa_code_object_version 6
	.protected	fft_rtc_back_len1078_factors_2_11_7_7_wgs_231_tpt_77_halfLds_sp_op_CI_CI_unitstride_sbrr_R2C_dirReg ; -- Begin function fft_rtc_back_len1078_factors_2_11_7_7_wgs_231_tpt_77_halfLds_sp_op_CI_CI_unitstride_sbrr_R2C_dirReg
	.globl	fft_rtc_back_len1078_factors_2_11_7_7_wgs_231_tpt_77_halfLds_sp_op_CI_CI_unitstride_sbrr_R2C_dirReg
	.p2align	8
	.type	fft_rtc_back_len1078_factors_2_11_7_7_wgs_231_tpt_77_halfLds_sp_op_CI_CI_unitstride_sbrr_R2C_dirReg,@function
fft_rtc_back_len1078_factors_2_11_7_7_wgs_231_tpt_77_halfLds_sp_op_CI_CI_unitstride_sbrr_R2C_dirReg: ; @fft_rtc_back_len1078_factors_2_11_7_7_wgs_231_tpt_77_halfLds_sp_op_CI_CI_unitstride_sbrr_R2C_dirReg
; %bb.0:
	s_load_b128 s[8:11], s[0:1], 0x0
	v_mul_u32_u24_e32 v1, 0x354, v0
	s_clause 0x1
	s_load_b128 s[4:7], s[0:1], 0x58
	s_load_b128 s[12:15], s[0:1], 0x18
	v_mov_b32_e32 v5, 0
	v_lshrrev_b32_e32 v3, 16, v1
	v_mov_b32_e32 v1, 0
	v_mov_b32_e32 v2, 0
	s_delay_alu instid0(VALU_DEP_3) | instskip(NEXT) | instid1(VALU_DEP_2)
	v_mad_co_u64_u32 v[3:4], null, ttmp9, 3, v[3:4]
	v_dual_mov_b32 v4, v5 :: v_dual_mov_b32 v61, v2
	s_delay_alu instid0(VALU_DEP_1) | instskip(NEXT) | instid1(VALU_DEP_3)
	v_dual_mov_b32 v60, v1 :: v_dual_mov_b32 v67, v4
	v_mov_b32_e32 v66, v3
	s_wait_kmcnt 0x0
	v_cmp_lt_u64_e64 s2, s[10:11], 2
	s_delay_alu instid0(VALU_DEP_1)
	s_and_b32 vcc_lo, exec_lo, s2
	s_cbranch_vccnz .LBB0_8
; %bb.1:
	s_load_b64 s[2:3], s[0:1], 0x10
	v_dual_mov_b32 v1, 0 :: v_dual_mov_b32 v8, v4
	v_dual_mov_b32 v2, 0 :: v_dual_mov_b32 v7, v3
	s_add_nc_u64 s[16:17], s[14:15], 8
	s_add_nc_u64 s[18:19], s[12:13], 8
	s_mov_b64 s[20:21], 1
	s_delay_alu instid0(VALU_DEP_1)
	v_dual_mov_b32 v61, v2 :: v_dual_mov_b32 v60, v1
	s_wait_kmcnt 0x0
	s_add_nc_u64 s[22:23], s[2:3], 8
	s_mov_b32 s3, 0
.LBB0_2:                                ; =>This Inner Loop Header: Depth=1
	s_load_b64 s[24:25], s[22:23], 0x0
                                        ; implicit-def: $vgpr66_vgpr67
	s_mov_b32 s2, exec_lo
	s_wait_kmcnt 0x0
	v_or_b32_e32 v6, s25, v8
	s_delay_alu instid0(VALU_DEP_1)
	v_cmpx_ne_u64_e32 0, v[5:6]
	s_wait_alu 0xfffe
	s_xor_b32 s26, exec_lo, s2
	s_cbranch_execz .LBB0_4
; %bb.3:                                ;   in Loop: Header=BB0_2 Depth=1
	s_cvt_f32_u32 s2, s24
	s_cvt_f32_u32 s27, s25
	s_sub_nc_u64 s[30:31], 0, s[24:25]
	s_wait_alu 0xfffe
	s_delay_alu instid0(SALU_CYCLE_1) | instskip(SKIP_1) | instid1(SALU_CYCLE_2)
	s_fmamk_f32 s2, s27, 0x4f800000, s2
	s_wait_alu 0xfffe
	v_s_rcp_f32 s2, s2
	s_delay_alu instid0(TRANS32_DEP_1) | instskip(SKIP_1) | instid1(SALU_CYCLE_2)
	s_mul_f32 s2, s2, 0x5f7ffffc
	s_wait_alu 0xfffe
	s_mul_f32 s27, s2, 0x2f800000
	s_wait_alu 0xfffe
	s_delay_alu instid0(SALU_CYCLE_2) | instskip(SKIP_1) | instid1(SALU_CYCLE_2)
	s_trunc_f32 s27, s27
	s_wait_alu 0xfffe
	s_fmamk_f32 s2, s27, 0xcf800000, s2
	s_cvt_u32_f32 s29, s27
	s_wait_alu 0xfffe
	s_delay_alu instid0(SALU_CYCLE_1) | instskip(SKIP_1) | instid1(SALU_CYCLE_2)
	s_cvt_u32_f32 s28, s2
	s_wait_alu 0xfffe
	s_mul_u64 s[34:35], s[30:31], s[28:29]
	s_wait_alu 0xfffe
	s_mul_hi_u32 s37, s28, s35
	s_mul_i32 s36, s28, s35
	s_mul_hi_u32 s2, s28, s34
	s_mul_i32 s33, s29, s34
	s_wait_alu 0xfffe
	s_add_nc_u64 s[36:37], s[2:3], s[36:37]
	s_mul_hi_u32 s27, s29, s34
	s_mul_hi_u32 s38, s29, s35
	s_add_co_u32 s2, s36, s33
	s_wait_alu 0xfffe
	s_add_co_ci_u32 s2, s37, s27
	s_mul_i32 s34, s29, s35
	s_add_co_ci_u32 s35, s38, 0
	s_wait_alu 0xfffe
	s_add_nc_u64 s[34:35], s[2:3], s[34:35]
	s_wait_alu 0xfffe
	v_add_co_u32 v4, s2, s28, s34
	s_delay_alu instid0(VALU_DEP_1) | instskip(SKIP_1) | instid1(VALU_DEP_1)
	s_cmp_lg_u32 s2, 0
	s_add_co_ci_u32 s29, s29, s35
	v_readfirstlane_b32 s28, v4
	s_wait_alu 0xfffe
	s_delay_alu instid0(VALU_DEP_1)
	s_mul_u64 s[30:31], s[30:31], s[28:29]
	s_wait_alu 0xfffe
	s_mul_hi_u32 s35, s28, s31
	s_mul_i32 s34, s28, s31
	s_mul_hi_u32 s2, s28, s30
	s_mul_i32 s33, s29, s30
	s_wait_alu 0xfffe
	s_add_nc_u64 s[34:35], s[2:3], s[34:35]
	s_mul_hi_u32 s27, s29, s30
	s_mul_hi_u32 s28, s29, s31
	s_wait_alu 0xfffe
	s_add_co_u32 s2, s34, s33
	s_add_co_ci_u32 s2, s35, s27
	s_mul_i32 s30, s29, s31
	s_add_co_ci_u32 s31, s28, 0
	s_wait_alu 0xfffe
	s_add_nc_u64 s[30:31], s[2:3], s[30:31]
	s_wait_alu 0xfffe
	v_add_co_u32 v4, s2, v4, s30
	s_delay_alu instid0(VALU_DEP_1) | instskip(SKIP_1) | instid1(VALU_DEP_1)
	s_cmp_lg_u32 s2, 0
	s_add_co_ci_u32 s2, s29, s31
	v_mul_hi_u32 v6, v7, v4
	s_wait_alu 0xfffe
	v_mad_co_u64_u32 v[9:10], null, v7, s2, 0
	v_mad_co_u64_u32 v[11:12], null, v8, v4, 0
	;; [unrolled: 1-line block ×3, first 2 shown]
	s_delay_alu instid0(VALU_DEP_3) | instskip(SKIP_1) | instid1(VALU_DEP_4)
	v_add_co_u32 v4, vcc_lo, v6, v9
	s_wait_alu 0xfffd
	v_add_co_ci_u32_e32 v6, vcc_lo, 0, v10, vcc_lo
	s_delay_alu instid0(VALU_DEP_2) | instskip(SKIP_1) | instid1(VALU_DEP_2)
	v_add_co_u32 v4, vcc_lo, v4, v11
	s_wait_alu 0xfffd
	v_add_co_ci_u32_e32 v4, vcc_lo, v6, v12, vcc_lo
	s_wait_alu 0xfffd
	v_add_co_ci_u32_e32 v6, vcc_lo, 0, v14, vcc_lo
	s_delay_alu instid0(VALU_DEP_2) | instskip(SKIP_1) | instid1(VALU_DEP_2)
	v_add_co_u32 v4, vcc_lo, v4, v13
	s_wait_alu 0xfffd
	v_add_co_ci_u32_e32 v6, vcc_lo, 0, v6, vcc_lo
	s_delay_alu instid0(VALU_DEP_2) | instskip(SKIP_1) | instid1(VALU_DEP_3)
	v_mul_lo_u32 v11, s25, v4
	v_mad_co_u64_u32 v[9:10], null, s24, v4, 0
	v_mul_lo_u32 v12, s24, v6
	s_delay_alu instid0(VALU_DEP_2) | instskip(NEXT) | instid1(VALU_DEP_2)
	v_sub_co_u32 v9, vcc_lo, v7, v9
	v_add3_u32 v10, v10, v12, v11
	s_delay_alu instid0(VALU_DEP_1) | instskip(SKIP_1) | instid1(VALU_DEP_1)
	v_sub_nc_u32_e32 v11, v8, v10
	s_wait_alu 0xfffd
	v_subrev_co_ci_u32_e64 v11, s2, s25, v11, vcc_lo
	v_add_co_u32 v12, s2, v4, 2
	s_wait_alu 0xf1ff
	v_add_co_ci_u32_e64 v13, s2, 0, v6, s2
	v_sub_co_u32 v14, s2, v9, s24
	v_sub_co_ci_u32_e32 v10, vcc_lo, v8, v10, vcc_lo
	s_wait_alu 0xf1ff
	v_subrev_co_ci_u32_e64 v11, s2, 0, v11, s2
	s_delay_alu instid0(VALU_DEP_3) | instskip(NEXT) | instid1(VALU_DEP_3)
	v_cmp_le_u32_e32 vcc_lo, s24, v14
	v_cmp_eq_u32_e64 s2, s25, v10
	s_wait_alu 0xfffd
	v_cndmask_b32_e64 v14, 0, -1, vcc_lo
	v_cmp_le_u32_e32 vcc_lo, s25, v11
	s_wait_alu 0xfffd
	v_cndmask_b32_e64 v15, 0, -1, vcc_lo
	v_cmp_le_u32_e32 vcc_lo, s24, v9
	;; [unrolled: 3-line block ×3, first 2 shown]
	s_wait_alu 0xfffd
	v_cndmask_b32_e64 v16, 0, -1, vcc_lo
	v_cmp_eq_u32_e32 vcc_lo, s25, v11
	s_wait_alu 0xf1ff
	s_delay_alu instid0(VALU_DEP_2)
	v_cndmask_b32_e64 v9, v16, v9, s2
	s_wait_alu 0xfffd
	v_cndmask_b32_e32 v11, v15, v14, vcc_lo
	v_add_co_u32 v14, vcc_lo, v4, 1
	s_wait_alu 0xfffd
	v_add_co_ci_u32_e32 v15, vcc_lo, 0, v6, vcc_lo
	s_delay_alu instid0(VALU_DEP_3) | instskip(SKIP_1) | instid1(VALU_DEP_2)
	v_cmp_ne_u32_e32 vcc_lo, 0, v11
	s_wait_alu 0xfffd
	v_dual_cndmask_b32 v10, v15, v13 :: v_dual_cndmask_b32 v11, v14, v12
	v_cmp_ne_u32_e32 vcc_lo, 0, v9
	s_wait_alu 0xfffd
	s_delay_alu instid0(VALU_DEP_2)
	v_dual_cndmask_b32 v67, v6, v10 :: v_dual_cndmask_b32 v66, v4, v11
.LBB0_4:                                ;   in Loop: Header=BB0_2 Depth=1
	s_wait_alu 0xfffe
	s_and_not1_saveexec_b32 s2, s26
	s_cbranch_execz .LBB0_6
; %bb.5:                                ;   in Loop: Header=BB0_2 Depth=1
	v_cvt_f32_u32_e32 v4, s24
	s_sub_co_i32 s26, 0, s24
	v_mov_b32_e32 v67, v5
	s_delay_alu instid0(VALU_DEP_2) | instskip(NEXT) | instid1(TRANS32_DEP_1)
	v_rcp_iflag_f32_e32 v4, v4
	v_mul_f32_e32 v4, 0x4f7ffffe, v4
	s_delay_alu instid0(VALU_DEP_1) | instskip(SKIP_1) | instid1(VALU_DEP_1)
	v_cvt_u32_f32_e32 v4, v4
	s_wait_alu 0xfffe
	v_mul_lo_u32 v6, s26, v4
	s_delay_alu instid0(VALU_DEP_1) | instskip(NEXT) | instid1(VALU_DEP_1)
	v_mul_hi_u32 v6, v4, v6
	v_add_nc_u32_e32 v4, v4, v6
	s_delay_alu instid0(VALU_DEP_1) | instskip(NEXT) | instid1(VALU_DEP_1)
	v_mul_hi_u32 v4, v7, v4
	v_mul_lo_u32 v6, v4, s24
	s_delay_alu instid0(VALU_DEP_1) | instskip(NEXT) | instid1(VALU_DEP_1)
	v_sub_nc_u32_e32 v6, v7, v6
	v_subrev_nc_u32_e32 v10, s24, v6
	v_cmp_le_u32_e32 vcc_lo, s24, v6
	s_wait_alu 0xfffd
	s_delay_alu instid0(VALU_DEP_2) | instskip(NEXT) | instid1(VALU_DEP_1)
	v_dual_cndmask_b32 v6, v6, v10 :: v_dual_add_nc_u32 v9, 1, v4
	v_cndmask_b32_e32 v4, v4, v9, vcc_lo
	s_delay_alu instid0(VALU_DEP_2) | instskip(NEXT) | instid1(VALU_DEP_2)
	v_cmp_le_u32_e32 vcc_lo, s24, v6
	v_add_nc_u32_e32 v9, 1, v4
	s_wait_alu 0xfffd
	s_delay_alu instid0(VALU_DEP_1)
	v_cndmask_b32_e32 v66, v4, v9, vcc_lo
.LBB0_6:                                ;   in Loop: Header=BB0_2 Depth=1
	s_wait_alu 0xfffe
	s_or_b32 exec_lo, exec_lo, s2
	v_mul_lo_u32 v4, v67, s24
	s_delay_alu instid0(VALU_DEP_2)
	v_mul_lo_u32 v6, v66, s25
	s_load_b64 s[26:27], s[18:19], 0x0
	v_mad_co_u64_u32 v[9:10], null, v66, s24, 0
	s_load_b64 s[24:25], s[16:17], 0x0
	s_add_nc_u64 s[20:21], s[20:21], 1
	s_add_nc_u64 s[16:17], s[16:17], 8
	s_wait_alu 0xfffe
	v_cmp_ge_u64_e64 s2, s[20:21], s[10:11]
	s_add_nc_u64 s[18:19], s[18:19], 8
	s_add_nc_u64 s[22:23], s[22:23], 8
	v_add3_u32 v4, v10, v6, v4
	v_sub_co_u32 v6, vcc_lo, v7, v9
	s_wait_alu 0xfffd
	s_delay_alu instid0(VALU_DEP_2) | instskip(SKIP_2) | instid1(VALU_DEP_1)
	v_sub_co_ci_u32_e32 v4, vcc_lo, v8, v4, vcc_lo
	s_and_b32 vcc_lo, exec_lo, s2
	s_wait_kmcnt 0x0
	v_mul_lo_u32 v7, s26, v4
	v_mul_lo_u32 v8, s27, v6
	v_mad_co_u64_u32 v[1:2], null, s26, v6, v[1:2]
	v_mul_lo_u32 v4, s24, v4
	v_mul_lo_u32 v9, s25, v6
	v_mad_co_u64_u32 v[60:61], null, s24, v6, v[60:61]
	s_delay_alu instid0(VALU_DEP_4) | instskip(NEXT) | instid1(VALU_DEP_2)
	v_add3_u32 v2, v8, v2, v7
	v_add3_u32 v61, v9, v61, v4
	s_wait_alu 0xfffe
	s_cbranch_vccnz .LBB0_8
; %bb.7:                                ;   in Loop: Header=BB0_2 Depth=1
	v_dual_mov_b32 v7, v66 :: v_dual_mov_b32 v8, v67
	s_branch .LBB0_2
.LBB0_8:
	s_load_b64 s[0:1], s[0:1], 0x28
	v_mul_hi_u32 v4, 0xaaaaaaab, v3
	s_lshl_b64 s[10:11], s[10:11], 3
                                        ; implicit-def: $vgpr62
                                        ; implicit-def: $vgpr64
                                        ; implicit-def: $vgpr72
                                        ; implicit-def: $vgpr70
                                        ; implicit-def: $vgpr68
	s_delay_alu instid0(VALU_DEP_1) | instskip(NEXT) | instid1(VALU_DEP_1)
	v_lshrrev_b32_e32 v4, 1, v4
	v_lshl_add_u32 v5, v4, 1, v4
	v_mul_hi_u32 v4, 0x3531ded, v0
	s_delay_alu instid0(VALU_DEP_2) | instskip(SKIP_3) | instid1(VALU_DEP_1)
	v_sub_nc_u32_e32 v3, v3, v5
	s_wait_kmcnt 0x0
	v_cmp_gt_u64_e32 vcc_lo, s[0:1], v[66:67]
	v_cmp_le_u64_e64 s0, s[0:1], v[66:67]
	s_and_saveexec_b32 s1, s0
	s_wait_alu 0xfffe
	s_xor_b32 s0, exec_lo, s1
; %bb.9:
	v_mul_u32_u24_e32 v1, 0x4d, v4
                                        ; implicit-def: $vgpr4
	s_delay_alu instid0(VALU_DEP_1) | instskip(NEXT) | instid1(VALU_DEP_1)
	v_sub_nc_u32_e32 v62, v0, v1
                                        ; implicit-def: $vgpr0
                                        ; implicit-def: $vgpr1_vgpr2
	v_add_nc_u32_e32 v64, 0x4d, v62
	v_add_nc_u32_e32 v72, 0x9a, v62
	;; [unrolled: 1-line block ×4, first 2 shown]
; %bb.10:
	s_wait_alu 0xfffe
	s_or_saveexec_b32 s1, s0
	v_mul_u32_u24_e32 v3, 0x437, v3
	s_add_nc_u64 s[2:3], s[14:15], s[10:11]
	s_delay_alu instid0(VALU_DEP_1)
	v_lshlrev_b32_e32 v69, 3, v3
	s_wait_alu 0xfffe
	s_xor_b32 exec_lo, exec_lo, s1
	s_cbranch_execz .LBB0_12
; %bb.11:
	s_add_nc_u64 s[10:11], s[12:13], s[10:11]
	v_lshlrev_b64_e32 v[1:2], 3, v[1:2]
	s_load_b64 s[10:11], s[10:11], 0x0
	s_wait_kmcnt 0x0
	v_mul_lo_u32 v3, s11, v66
	v_mul_lo_u32 v7, s10, v67
	v_mad_co_u64_u32 v[5:6], null, s10, v66, 0
	s_delay_alu instid0(VALU_DEP_1) | instskip(SKIP_1) | instid1(VALU_DEP_2)
	v_add3_u32 v6, v6, v7, v3
	v_mul_u32_u24_e32 v7, 0x4d, v4
	v_lshlrev_b64_e32 v[3:4], 3, v[5:6]
	s_delay_alu instid0(VALU_DEP_2) | instskip(NEXT) | instid1(VALU_DEP_1)
	v_sub_nc_u32_e32 v62, v0, v7
	v_lshlrev_b32_e32 v28, 3, v62
	s_delay_alu instid0(VALU_DEP_3) | instskip(SKIP_1) | instid1(VALU_DEP_4)
	v_add_co_u32 v0, s0, s4, v3
	s_wait_alu 0xf1ff
	v_add_co_ci_u32_e64 v3, s0, s5, v4, s0
	v_add_nc_u32_e32 v64, 0x4d, v62
	s_delay_alu instid0(VALU_DEP_3) | instskip(SKIP_1) | instid1(VALU_DEP_3)
	v_add_co_u32 v0, s0, v0, v1
	s_wait_alu 0xf1ff
	v_add_co_ci_u32_e64 v1, s0, v3, v2, s0
	v_add_nc_u32_e32 v72, 0x9a, v62
	s_delay_alu instid0(VALU_DEP_3) | instskip(SKIP_1) | instid1(VALU_DEP_3)
	v_add_co_u32 v0, s0, v0, v28
	s_wait_alu 0xf1ff
	v_add_co_ci_u32_e64 v1, s0, 0, v1, s0
	s_clause 0xd
	global_load_b64 v[2:3], v[0:1], off
	global_load_b64 v[4:5], v[0:1], off offset:616
	global_load_b64 v[6:7], v[0:1], off offset:1232
	;; [unrolled: 1-line block ×13, first 2 shown]
	v_add3_u32 v28, 0, v69, v28
	v_add_nc_u32_e32 v70, 0x134, v62
	v_add_nc_u32_e32 v68, 0x1ce, v62
	s_delay_alu instid0(VALU_DEP_3)
	v_add_nc_u32_e32 v29, 0x800, v28
	v_add_nc_u32_e32 v30, 0xc00, v28
	v_add_nc_u32_e32 v31, 0x1000, v28
	v_add_nc_u32_e32 v32, 0x1800, v28
	s_wait_loadcnt 0xc
	ds_store_2addr_b64 v28, v[2:3], v[4:5] offset1:77
	s_wait_loadcnt 0xa
	ds_store_2addr_b64 v28, v[6:7], v[8:9] offset0:154 offset1:231
	s_wait_loadcnt 0x8
	ds_store_2addr_b64 v29, v[10:11], v[12:13] offset0:52 offset1:129
	s_wait_loadcnt 0x6
	ds_store_2addr_b64 v30, v[14:15], v[16:17] offset0:78 offset1:155
	s_wait_loadcnt 0x4
	ds_store_2addr_b64 v31, v[18:19], v[20:21] offset0:104 offset1:181
	s_wait_loadcnt 0x2
	ds_store_2addr_b64 v32, v[22:23], v[24:25] offset0:2 offset1:79
	s_wait_loadcnt 0x0
	ds_store_2addr_b64 v32, v[26:27], v[0:1] offset0:156 offset1:233
.LBB0_12:
	s_or_b32 exec_lo, exec_lo, s1
	v_lshlrev_b32_e32 v63, 3, v62
	v_add_nc_u32_e32 v77, 0, v69
	s_load_b64 s[2:3], s[2:3], 0x0
	global_wb scope:SCOPE_SE
	s_wait_dscnt 0x0
	s_wait_kmcnt 0x0
	s_barrier_signal -1
	v_add3_u32 v65, 0, v63, v69
	v_add_nc_u32_e32 v78, v77, v63
	s_barrier_wait -1
	global_inv scope:SCOPE_SE
	v_cmp_gt_u32_e64 s0, 21, v62
	v_add_nc_u32_e32 v8, 0x1000, v65
	v_add_nc_u32_e32 v6, 0x400, v65
	ds_load_2addr_b64 v[0:3], v8 offset0:27 offset1:104
	ds_load_b64 v[9:10], v78
	ds_load_2addr_b64 v[13:16], v65 offset0:77 offset1:154
	v_add_nc_u32_e32 v12, 0x1400, v65
	v_add_nc_u32_e32 v5, 0x1800, v65
	v_lshlrev_b32_e32 v71, 3, v64
	s_wait_dscnt 0x1
	v_sub_f32_e32 v35, v9, v0
	s_wait_dscnt 0x0
	v_sub_f32_e32 v37, v13, v2
	ds_load_2addr_b64 v[17:20], v12 offset0:53 offset1:130
	ds_load_2addr_b64 v[21:24], v6 offset0:103 offset1:180
	;; [unrolled: 1-line block ×3, first 2 shown]
	v_add_nc_u32_e32 v4, 0x800, v65
	ds_load_b64 v[33:34], v65 offset:8008
	ds_load_2addr_b64 v[29:32], v4 offset0:129 offset1:206
	v_sub_f32_e32 v36, v10, v1
	v_sub_f32_e32 v38, v14, v3
	v_fma_f32 v9, v9, 2.0, -v35
	v_lshl_add_u32 v7, v62, 4, v77
	v_fma_f32 v13, v13, 2.0, -v37
	v_fma_f32 v10, v10, 2.0, -v36
	;; [unrolled: 1-line block ×3, first 2 shown]
	v_lshl_add_u32 v11, v64, 4, v77
	global_wb scope:SCOPE_SE
	s_wait_dscnt 0x0
	s_barrier_signal -1
	s_barrier_wait -1
	global_inv scope:SCOPE_SE
	v_dual_sub_f32 v17, v15, v17 :: v_dual_sub_f32 v18, v16, v18
	v_dual_sub_f32 v19, v21, v19 :: v_dual_sub_f32 v20, v22, v20
	;; [unrolled: 1-line block ×3, first 2 shown]
	s_delay_alu instid0(VALU_DEP_3)
	v_fma_f32 v15, v15, 2.0, -v17
	v_dual_sub_f32 v73, v29, v27 :: v_dual_sub_f32 v74, v30, v28
	v_dual_sub_f32 v3, v32, v34 :: v_dual_sub_f32 v2, v31, v33
	v_fma_f32 v16, v16, 2.0, -v18
	ds_store_2addr_b64 v7, v[9:10], v[35:36] offset1:1
	ds_store_2addr_b64 v11, v[13:14], v[37:38] offset1:1
	v_lshl_add_u32 v9, v72, 4, v77
	v_fma_f32 v21, v21, 2.0, -v19
	v_fma_f32 v22, v22, 2.0, -v20
	v_add_nc_u32_e32 v10, 0xe70, v7
	v_fma_f32 v23, v23, 2.0, -v25
	v_lshl_add_u32 v11, v70, 4, v77
	v_add_nc_u32_e32 v7, 0x1810, v7
	v_fma_f32 v24, v24, 2.0, -v26
	v_fma_f32 v27, v29, 2.0, -v73
	;; [unrolled: 1-line block ×5, first 2 shown]
	v_lshl_add_u32 v13, v68, 4, v77
	ds_store_2addr_b64 v9, v[15:16], v[17:18] offset1:1
	ds_store_2addr_b64 v10, v[21:22], v[19:20] offset1:1
	;; [unrolled: 1-line block ×5, first 2 shown]
	v_add_nc_u32_e32 v7, 0xc00, v65
	global_wb scope:SCOPE_SE
	s_wait_dscnt 0x0
	s_barrier_signal -1
	s_barrier_wait -1
	global_inv scope:SCOPE_SE
	ds_load_b64 v[75:76], v78
	ds_load_2addr_b64 v[36:39], v65 offset0:98 offset1:196
	ds_load_2addr_b64 v[32:35], v4 offset0:38 offset1:136
	;; [unrolled: 1-line block ×5, first 2 shown]
                                        ; implicit-def: $vgpr5
                                        ; implicit-def: $vgpr9
                                        ; implicit-def: $vgpr19
                                        ; implicit-def: $vgpr15
	s_and_saveexec_b32 s1, s0
	s_cbranch_execz .LBB0_14
; %bb.13:
	v_add3_u32 v13, 0, v71, v69
	v_add_nc_u32_e32 v16, 0x1c00, v65
	ds_load_2addr_b64 v[0:3], v6 offset0:47 offset1:145
	ds_load_2addr_b64 v[4:7], v4 offset0:115 offset1:213
	;; [unrolled: 1-line block ×3, first 2 shown]
	ds_load_b64 v[73:74], v13
	ds_load_2addr_b64 v[12:15], v12 offset0:123 offset1:221
	ds_load_2addr_b64 v[16:19], v16 offset0:63 offset1:161
.LBB0_14:
	s_wait_alu 0xfffe
	s_or_b32 exec_lo, exec_lo, s1
	v_and_b32_e32 v79, 1, v62
	v_lshrrev_b32_e32 v80, 1, v62
	s_delay_alu instid0(VALU_DEP_2) | instskip(NEXT) | instid1(VALU_DEP_2)
	v_mul_u32_u24_e32 v40, 10, v79
	v_mul_u32_u24_e32 v80, 22, v80
	s_delay_alu instid0(VALU_DEP_2) | instskip(NEXT) | instid1(VALU_DEP_2)
	v_lshlrev_b32_e32 v56, 3, v40
	v_or_b32_e32 v79, v80, v79
	s_clause 0x4
	global_load_b128 v[52:55], v56, s[8:9]
	global_load_b128 v[48:51], v56, s[8:9] offset:16
	global_load_b128 v[44:47], v56, s[8:9] offset:32
	;; [unrolled: 1-line block ×4, first 2 shown]
	v_lshlrev_b32_e32 v79, 3, v79
	global_wb scope:SCOPE_SE
	s_wait_loadcnt_dscnt 0x0
	s_barrier_signal -1
	s_barrier_wait -1
	global_inv scope:SCOPE_SE
	v_mul_f32_e32 v80, v53, v37
	v_dual_mul_f32 v82, v49, v33 :: v_dual_mul_f32 v81, v55, v39
	v_dual_mul_f32 v55, v55, v38 :: v_dual_mul_f32 v84, v45, v29
	;; [unrolled: 1-line block ×4, first 2 shown]
	s_delay_alu instid0(VALU_DEP_3)
	v_dual_mul_f32 v87, v43, v27 :: v_dual_fmac_f32 v84, v44, v28
	v_mul_f32_e32 v89, v23, v59
	v_dual_mul_f32 v85, v47, v31 :: v_dual_fmac_f32 v80, v52, v36
	v_dual_mul_f32 v47, v47, v30 :: v_dual_fmac_f32 v82, v48, v32
	;; [unrolled: 1-line block ×3, first 2 shown]
	v_fmac_f32_e32 v87, v42, v26
	v_mul_f32_e32 v41, v41, v24
	v_dual_fmac_f32 v88, v20, v56 :: v_dual_fmac_f32 v89, v22, v58
	v_mul_f32_e32 v49, v49, v32
	v_mul_f32_e32 v53, v53, v36
	s_delay_alu instid0(VALU_DEP_4)
	v_fma_f32 v24, v40, v25, -v41
	v_fma_f32 v25, v42, v27, -v43
	v_fmac_f32_e32 v81, v54, v38
	v_dual_mul_f32 v59, v22, v59 :: v_dual_add_f32 v22, v80, v89
	v_fma_f32 v32, v48, v33, -v49
	v_fma_f32 v33, v50, v35, -v51
	v_fmac_f32_e32 v83, v50, v34
	v_add3_u32 v79, 0, v79, v69
	s_delay_alu instid0(VALU_DEP_4)
	v_sub_f32_e32 v42, v32, v25
	v_mul_f32_e32 v57, v20, v57
	v_dual_add_f32 v20, v80, v75 :: v_dual_fmac_f32 v85, v46, v30
	v_fma_f32 v36, v52, v37, -v53
	v_fma_f32 v37, v54, v39, -v55
	v_add_f32_e32 v30, v81, v88
	s_delay_alu instid0(VALU_DEP_4)
	v_add_f32_e32 v20, v20, v81
	v_dual_sub_f32 v50, v84, v85 :: v_dual_mul_f32 v45, v45, v28
	v_sub_f32_e32 v26, v80, v89
	v_fma_f32 v38, v21, v56, -v57
	v_sub_f32_e32 v34, v81, v88
	v_fma_f32 v41, v23, v58, -v59
	v_fma_f32 v28, v44, v29, -v45
	;; [unrolled: 1-line block ×3, first 2 shown]
	v_sub_f32_e32 v35, v37, v38
	s_delay_alu instid0(VALU_DEP_4) | instskip(SKIP_1) | instid1(VALU_DEP_3)
	v_dual_add_f32 v44, v33, v24 :: v_dual_add_f32 v23, v36, v41
	v_dual_sub_f32 v46, v83, v86 :: v_dual_sub_f32 v27, v36, v41
	v_mul_f32_e32 v58, 0xbf68dda4, v35
	v_add_f32_e32 v48, v84, v85
	v_dual_add_f32 v21, v36, v76 :: v_dual_sub_f32 v40, v82, v87
	v_dual_add_f32 v49, v28, v29 :: v_dual_mul_f32 v94, 0xbf7d64f0, v42
	v_dual_add_f32 v31, v37, v38 :: v_dual_mul_f32 v52, 0xbf68dda4, v27
	;; [unrolled: 1-line block ×3, first 2 shown]
	s_delay_alu instid0(VALU_DEP_4)
	v_dual_add_f32 v21, v21, v37 :: v_dual_mul_f32 v96, 0x3e903f40, v42
	v_dual_mul_f32 v37, 0xbf0a6770, v27 :: v_dual_mul_f32 v100, 0xbf0a6770, v42
	v_dual_mul_f32 v51, 0x3f575c64, v23 :: v_dual_mul_f32 v108, 0x3f575c64, v44
	v_mul_f32_e32 v53, 0x3ed4b147, v23
	v_dual_mul_f32 v54, 0xbf7d64f0, v27 :: v_dual_sub_f32 v45, v33, v24
	v_mul_f32_e32 v90, 0x3e903f40, v35
	v_dual_mul_f32 v55, 0xbe11bafb, v23 :: v_dual_add_f32 v20, v20, v82
	v_dual_mul_f32 v57, 0xbf27a4f4, v23 :: v_dual_mul_f32 v106, 0xbf27a4f4, v44
	v_dual_mul_f32 v23, 0xbf75a155, v23 :: v_dual_mul_f32 v114, 0xbf75a155, v49
	v_mul_f32_e32 v27, 0xbe903f40, v27
	v_dual_add_f32 v36, v82, v87 :: v_dual_add_f32 v43, v83, v86
	v_dual_mul_f32 v80, 0xbf4178ce, v35 :: v_dual_sub_f32 v47, v28, v29
	v_mul_f32_e32 v92, 0x3f7d64f0, v35
	v_dual_mul_f32 v59, 0x3ed4b147, v31 :: v_dual_fmamk_f32 v118, v22, 0x3ed4b147, v52
	v_dual_mul_f32 v81, 0xbf27a4f4, v31 :: v_dual_mul_f32 v116, 0xbf27a4f4, v49
	v_dual_mul_f32 v91, 0xbf75a155, v31 :: v_dual_fmamk_f32 v124, v22, 0xbf75a155, v27
	v_dual_mul_f32 v93, 0xbe11bafb, v31 :: v_dual_fmamk_f32 v120, v22, 0xbe11bafb, v54
	;; [unrolled: 1-line block ×3, first 2 shown]
	v_mul_f32_e32 v31, 0x3f575c64, v31
	v_dual_mul_f32 v95, 0xbe11bafb, v39 :: v_dual_fmamk_f32 v130, v30, 0xbe11bafb, v92
	v_dual_mul_f32 v97, 0xbf75a155, v39 :: v_dual_fmamk_f32 v128, v30, 0xbf75a155, v90
	v_mul_f32_e32 v98, 0x3f68dda4, v42
	v_mul_f32_e32 v99, 0x3ed4b147, v39
	v_dual_mul_f32 v101, 0x3f575c64, v39 :: v_dual_fmamk_f32 v132, v30, 0x3f575c64, v35
	v_dual_mul_f32 v42, 0xbf4178ce, v42 :: v_dual_add_f32 v21, v21, v32
	v_dual_mul_f32 v39, 0xbf27a4f4, v39 :: v_dual_fmamk_f32 v122, v22, 0xbf27a4f4, v56
	v_mul_f32_e32 v102, 0xbf4178ce, v45
	v_dual_mul_f32 v104, 0xbf0a6770, v45 :: v_dual_fmac_f32 v51, 0xbf0a6770, v26
	v_dual_mul_f32 v105, 0xbe903f40, v45 :: v_dual_mul_f32 v110, 0xbe903f40, v47
	v_mul_f32_e32 v107, 0xbe11bafb, v44
	v_dual_mul_f32 v109, 0xbf75a155, v44 :: v_dual_fmamk_f32 v134, v36, 0xbf75a155, v96
	v_mul_f32_e32 v44, 0x3ed4b147, v44
	v_dual_mul_f32 v115, 0x3f575c64, v49 :: v_dual_fmamk_f32 v138, v36, 0x3f575c64, v100
	v_mul_f32_e32 v117, 0x3ed4b147, v49
	v_mul_f32_e32 v49, 0xbe11bafb, v49
	;; [unrolled: 1-line block ×4, first 2 shown]
	v_fmamk_f32 v32, v22, 0x3f575c64, v37
	v_fma_f32 v37, 0x3f575c64, v22, -v37
	v_fmamk_f32 v156, v50, 0x3f7d64f0, v49
	v_fmamk_f32 v119, v26, 0x3f68dda4, v53
	v_fma_f32 v52, 0x3ed4b147, v22, -v52
	v_dual_add_f32 v32, v32, v75 :: v_dual_fmac_f32 v53, 0xbf68dda4, v26
	v_fmamk_f32 v148, v46, 0xbf68dda4, v44
	v_fma_f32 v54, 0xbe11bafb, v22, -v54
	v_fma_f32 v56, 0xbf27a4f4, v22, -v56
	;; [unrolled: 1-line block ×3, first 2 shown]
	v_dual_mul_f32 v111, 0x3f0a6770, v47 :: v_dual_fmamk_f32 v146, v46, 0x3f0a6770, v108
	v_mul_f32_e32 v112, 0xbf4178ce, v47
	v_fmamk_f32 v121, v26, 0x3f7d64f0, v55
	v_fmac_f32_e32 v55, 0xbf7d64f0, v26
	v_dual_fmamk_f32 v123, v26, 0x3f4178ce, v57 :: v_dual_add_f32 v52, v52, v75
	v_fmac_f32_e32 v57, 0xbf4178ce, v26
	v_fmamk_f32 v125, v26, 0x3e903f40, v23
	v_dual_fmac_f32 v23, 0xbe903f40, v26 :: v_dual_add_f32 v54, v54, v75
	v_fmamk_f32 v26, v30, 0x3ed4b147, v58
	v_fmamk_f32 v27, v34, 0x3f68dda4, v59
	v_fma_f32 v58, 0x3ed4b147, v30, -v58
	v_dual_fmac_f32 v59, 0xbf68dda4, v34 :: v_dual_add_f32 v56, v56, v75
	v_dual_fmamk_f32 v126, v30, 0xbf27a4f4, v80 :: v_dual_add_f32 v37, v37, v75
	v_dual_fmamk_f32 v127, v34, 0x3f4178ce, v81 :: v_dual_add_f32 v20, v20, v83
	v_fma_f32 v80, 0xbf27a4f4, v30, -v80
	v_fmac_f32_e32 v81, 0xbf4178ce, v34
	v_fma_f32 v90, 0xbf75a155, v30, -v90
	v_fma_f32 v92, 0xbe11bafb, v30, -v92
	;; [unrolled: 1-line block ×3, first 2 shown]
	v_dual_fmamk_f32 v140, v36, 0xbf27a4f4, v42 :: v_dual_add_f32 v51, v51, v76
	v_fmamk_f32 v131, v34, 0xbf7d64f0, v93
	v_dual_fmac_f32 v93, 0x3f7d64f0, v34 :: v_dual_add_f32 v22, v22, v75
	v_dual_fmamk_f32 v144, v43, 0x3ed4b147, v45 :: v_dual_add_f32 v53, v53, v76
	v_dual_mul_f32 v113, 0x3f68dda4, v47 :: v_dual_fmac_f32 v44, 0x3f68dda4, v46
	v_mul_f32_e32 v47, 0xbf7d64f0, v47
	v_dual_fmamk_f32 v129, v34, 0xbe903f40, v91 :: v_dual_add_f32 v20, v20, v84
	v_fmac_f32_e32 v91, 0x3e903f40, v34
	v_dual_fmamk_f32 v133, v34, 0xbf0a6770, v31 :: v_dual_fmac_f32 v108, 0xbf0a6770, v46
	v_dual_fmac_f32 v31, 0x3f0a6770, v34 :: v_dual_add_f32 v26, v26, v32
	v_fmamk_f32 v34, v36, 0xbe11bafb, v94
	v_fma_f32 v94, 0xbe11bafb, v36, -v94
	v_fmamk_f32 v135, v40, 0xbe903f40, v97
	v_fma_f32 v96, 0xbf75a155, v36, -v96
	v_dual_fmac_f32 v97, 0x3e903f40, v40 :: v_dual_add_f32 v54, v90, v54
	v_fmamk_f32 v136, v36, 0x3ed4b147, v98
	v_fma_f32 v98, 0x3ed4b147, v36, -v98
	v_dual_fmamk_f32 v139, v40, 0x3f0a6770, v101 :: v_dual_add_f32 v22, v30, v22
	v_fma_f32 v100, 0x3f575c64, v36, -v100
	v_fma_f32 v36, 0xbf27a4f4, v36, -v42
	v_dual_fmamk_f32 v142, v43, 0x3f575c64, v104 :: v_dual_fmamk_f32 v149, v48, 0x3f575c64, v111
	v_dual_add_f32 v21, v21, v33 :: v_dual_add_f32 v32, v59, v51
	s_delay_alu instid0(VALU_DEP_3)
	v_add_f32_e32 v22, v36, v22
	v_dual_add_f32 v51, v80, v52 :: v_dual_add_f32 v52, v81, v53
	v_fmamk_f32 v35, v40, 0x3f7d64f0, v95
	v_fmac_f32_e32 v95, 0xbf7d64f0, v40
	v_fmamk_f32 v137, v40, 0xbf68dda4, v99
	v_fmac_f32_e32 v99, 0x3f68dda4, v40
	v_dual_fmac_f32 v101, 0xbf0a6770, v40 :: v_dual_add_f32 v20, v20, v85
	v_dual_fmamk_f32 v141, v40, 0x3f4178ce, v39 :: v_dual_fmamk_f32 v154, v50, 0x3f4178ce, v116
	v_fmac_f32_e32 v39, 0xbf4178ce, v40
	v_fmamk_f32 v40, v43, 0xbf27a4f4, v102
	v_fma_f32 v42, 0xbf27a4f4, v43, -v102
	v_fmamk_f32 v102, v43, 0xbe11bafb, v103
	v_fma_f32 v103, 0xbe11bafb, v43, -v103
	v_fma_f32 v104, 0x3f575c64, v43, -v104
	v_fmamk_f32 v143, v43, 0xbf75a155, v105
	v_fma_f32 v105, 0xbf75a155, v43, -v105
	v_fma_f32 v43, 0x3ed4b147, v43, -v45
	v_dual_fmamk_f32 v45, v46, 0x3f4178ce, v106 :: v_dual_add_f32 v56, v92, v56
	v_fmac_f32_e32 v106, 0xbf4178ce, v46
	v_fmamk_f32 v145, v46, 0xbf7d64f0, v107
	v_fmamk_f32 v147, v46, 0x3e903f40, v109
	v_fmac_f32_e32 v109, 0xbe903f40, v46
	v_fma_f32 v111, 0x3f575c64, v48, -v111
	v_fmamk_f32 v150, v48, 0xbf27a4f4, v112
	v_fma_f32 v112, 0xbf27a4f4, v48, -v112
	v_dual_fmamk_f32 v151, v48, 0x3ed4b147, v113 :: v_dual_add_f32 v26, v34, v26
	v_fma_f32 v113, 0x3ed4b147, v48, -v113
	v_fmamk_f32 v152, v48, 0xbe11bafb, v47
	v_fma_f32 v47, 0xbe11bafb, v48, -v47
	v_fmamk_f32 v153, v50, 0xbf0a6770, v115
	v_fmac_f32_e32 v115, 0x3f0a6770, v50
	v_dual_fmac_f32 v116, 0xbf4178ce, v50 :: v_dual_add_f32 v57, v57, v76
	v_fmamk_f32 v155, v50, 0xbf68dda4, v117
	v_fmac_f32_e32 v117, 0x3f68dda4, v50
	v_dual_fmac_f32 v49, 0xbf7d64f0, v50 :: v_dual_add_f32 v34, v97, v52
	v_dual_add_f32 v21, v21, v28 :: v_dual_add_f32 v28, v58, v37
	v_fmac_f32_e32 v107, 0x3f7d64f0, v46
	v_fmamk_f32 v46, v48, 0xbf75a155, v110
	v_fma_f32 v110, 0xbf75a155, v48, -v110
	v_fmamk_f32 v48, v50, 0x3e903f40, v114
	v_add_f32_e32 v28, v94, v28
	v_fmac_f32_e32 v114, 0xbe903f40, v50
	v_add_f32_e32 v50, v82, v76
	v_add_f32_e32 v82, v118, v75
	v_dual_add_f32 v118, v119, v76 :: v_dual_add_f32 v119, v120, v75
	v_dual_add_f32 v120, v121, v76 :: v_dual_add_f32 v121, v122, v75
	;; [unrolled: 1-line block ×3, first 2 shown]
	v_add_f32_e32 v23, v23, v76
	v_add_f32_e32 v27, v27, v50
	v_dual_add_f32 v50, v127, v118 :: v_dual_add_f32 v21, v21, v29
	v_add_f32_e32 v55, v55, v76
	v_dual_add_f32 v33, v125, v76 :: v_dual_add_f32 v20, v20, v86
	s_delay_alu instid0(VALU_DEP_4) | instskip(NEXT) | instid1(VALU_DEP_4)
	v_add_f32_e32 v27, v35, v27
	v_dual_add_f32 v21, v21, v24 :: v_dual_add_f32 v24, v40, v26
	v_add_f32_e32 v23, v31, v23
	v_add_f32_e32 v31, v135, v50
	;; [unrolled: 1-line block ×6, first 2 shown]
	s_delay_alu instid0(VALU_DEP_4) | instskip(NEXT) | instid1(VALU_DEP_4)
	v_dual_add_f32 v55, v91, v55 :: v_dual_add_f32 v36, v104, v50
	v_dual_add_f32 v56, v140, v76 :: v_dual_add_f32 v59, v130, v121
	v_add_f32_e32 v23, v39, v23
	v_add_f32_e32 v75, v131, v122
	s_delay_alu instid0(VALU_DEP_3) | instskip(NEXT) | instid1(VALU_DEP_4)
	v_dual_add_f32 v57, v93, v57 :: v_dual_add_f32 v50, v144, v56
	v_add_f32_e32 v52, v138, v59
	v_dual_add_f32 v26, v45, v27 :: v_dual_add_f32 v27, v42, v28
	v_dual_add_f32 v42, v105, v54 :: v_dual_add_f32 v35, v136, v53
	s_delay_alu instid0(VALU_DEP_3)
	v_dual_add_f32 v39, v143, v52 :: v_dual_add_f32 v44, v44, v23
	v_add_f32_e32 v52, v20, v87
	v_add_f32_e32 v53, v139, v75
	;; [unrolled: 1-line block ×3, first 2 shown]
	v_dual_add_f32 v29, v95, v32 :: v_dual_add_f32 v32, v96, v51
	v_add_f32_e32 v58, v129, v120
	s_delay_alu instid0(VALU_DEP_4) | instskip(NEXT) | instid1(VALU_DEP_4)
	v_add_f32_e32 v40, v147, v53
	v_add_f32_e32 v30, v134, v37
	v_dual_add_f32 v33, v133, v33 :: v_dual_add_f32 v20, v46, v24
	s_delay_alu instid0(VALU_DEP_4) | instskip(NEXT) | instid1(VALU_DEP_3)
	v_dual_add_f32 v28, v106, v29 :: v_dual_add_f32 v37, v137, v58
	v_dual_add_f32 v29, v102, v30 :: v_dual_add_f32 v30, v145, v31
	v_add_f32_e32 v31, v103, v32
	v_add_f32_e32 v32, v107, v34
	v_add_f32_e32 v51, v99, v55
	v_add_f32_e32 v33, v141, v33
	v_add_f32_e32 v43, v43, v22
	v_add_f32_e32 v55, v101, v57
	v_add_f32_e32 v53, v21, v25
	v_dual_add_f32 v21, v48, v26 :: v_dual_add_f32 v26, v111, v31
	v_add_f32_e32 v34, v142, v35
	v_dual_add_f32 v22, v110, v27 :: v_dual_add_f32 v27, v115, v32
	v_dual_add_f32 v32, v151, v39 :: v_dual_add_f32 v35, v146, v37
	;; [unrolled: 1-line block ×3, first 2 shown]
	v_add_f32_e32 v36, v152, v50
	v_add_f32_e32 v37, v108, v51
	;; [unrolled: 1-line block ×11, first 2 shown]
	v_dual_add_f32 v24, v149, v29 :: v_dual_add_f32 v29, v154, v35
	v_add_f32_e32 v31, v116, v37
	v_add_f32_e32 v37, v156, v51
	v_add_f32_e32 v35, v117, v45
	v_dual_add_f32 v39, v49, v44 :: v_dual_add_f32 v40, v40, v89
	v_add_f32_e32 v41, v42, v41
	ds_store_2addr_b64 v79, v[24:25], v[28:29] offset0:4 offset1:6
	ds_store_2addr_b64 v79, v[32:33], v[36:37] offset0:8 offset1:10
	;; [unrolled: 1-line block ×4, first 2 shown]
	ds_store_2addr_b64 v79, v[40:41], v[20:21] offset1:2
	ds_store_b64 v79, v[22:23] offset:160
	s_and_saveexec_b32 s1, s0
	s_cbranch_execz .LBB0_16
; %bb.15:
	v_and_b32_e32 v40, 1, v64
	v_lshrrev_b32_e32 v41, 1, v64
	s_delay_alu instid0(VALU_DEP_2) | instskip(NEXT) | instid1(VALU_DEP_2)
	v_mul_u32_u24_e32 v20, 10, v40
	v_mul_lo_u32 v41, v41, 22
	s_delay_alu instid0(VALU_DEP_2)
	v_lshlrev_b32_e32 v36, 3, v20
	s_clause 0x4
	global_load_b128 v[20:23], v36, s[8:9] offset:64
	global_load_b128 v[24:27], v36, s[8:9]
	global_load_b128 v[28:31], v36, s[8:9] offset:48
	global_load_b128 v[32:35], v36, s[8:9] offset:16
	;; [unrolled: 1-line block ×3, first 2 shown]
	v_or_b32_e32 v40, v41, v40
	s_wait_loadcnt 0x4
	s_delay_alu instid0(VALU_DEP_1)
	v_dual_mul_f32 v41, v18, v23 :: v_dual_lshlrev_b32 v40, 3, v40
	s_wait_loadcnt 0x3
	v_dual_mul_f32 v23, v19, v23 :: v_dual_mul_f32 v42, v0, v25
	v_mul_f32_e32 v25, v1, v25
	v_dual_mul_f32 v43, v16, v21 :: v_dual_mul_f32 v44, v2, v27
	s_wait_loadcnt 0x1
	v_dual_mul_f32 v45, v14, v31 :: v_dual_mul_f32 v46, v4, v33
	s_wait_loadcnt 0x0
	v_dual_mul_f32 v31, v15, v31 :: v_dual_mul_f32 v50, v8, v37
	v_mul_f32_e32 v27, v3, v27
	v_fmac_f32_e32 v23, v18, v22
	v_fma_f32 v18, v17, v20, -v43
	s_delay_alu instid0(VALU_DEP_4)
	v_fmac_f32_e32 v31, v14, v30
	v_fmac_f32_e32 v25, v0, v24
	v_fma_f32 v0, v3, v26, -v44
	v_mul_f32_e32 v33, v5, v33
	v_dual_mul_f32 v21, v17, v21 :: v_dual_mul_f32 v48, v6, v35
	v_mul_f32_e32 v47, v12, v29
	v_fma_f32 v1, v1, v24, -v42
	v_fma_f32 v15, v15, v30, -v45
	v_sub_f32_e32 v24, v0, v18
	v_fmac_f32_e32 v33, v4, v32
	v_fmac_f32_e32 v27, v2, v26
	v_fma_f32 v2, v5, v32, -v46
	v_mul_f32_e32 v29, v13, v29
	v_fma_f32 v41, v19, v22, -v41
	v_add_f32_e32 v26, v33, v31
	v_fma_f32 v4, v7, v34, -v48
	v_mul_f32_e32 v37, v9, v37
	v_fmac_f32_e32 v29, v12, v28
	v_fmac_f32_e32 v21, v16, v20
	v_mul_f32_e32 v49, v10, v39
	v_dual_mul_f32 v39, v11, v39 :: v_dual_sub_f32 v20, v1, v41
	v_add3_u32 v40, 0, v40, v69
	s_delay_alu instid0(VALU_DEP_2) | instskip(NEXT) | instid1(VALU_DEP_4)
	v_dual_fmac_f32 v39, v10, v38 :: v_dual_sub_f32 v10, v27, v21
	v_fma_f32 v5, v11, v38, -v49
	v_mul_f32_e32 v35, v7, v35
	v_dual_add_f32 v7, v1, v41 :: v_dual_mul_f32 v46, 0xbe903f40, v20
	s_delay_alu instid0(VALU_DEP_2) | instskip(NEXT) | instid1(VALU_DEP_2)
	v_dual_mul_f32 v56, 0xbf4178ce, v20 :: v_dual_fmac_f32 v35, v6, v34
	v_mul_f32_e32 v38, 0xbf75a155, v7
	v_fma_f32 v6, v9, v36, -v50
	v_add_f32_e32 v9, v0, v18
	v_dual_fmac_f32 v37, v8, v36 :: v_dual_mul_f32 v76, 0xbe11bafb, v7
	s_delay_alu instid0(VALU_DEP_3) | instskip(NEXT) | instid1(VALU_DEP_3)
	v_add_f32_e32 v16, v6, v5
	v_mul_f32_e32 v42, 0x3f575c64, v9
	s_delay_alu instid0(VALU_DEP_3) | instskip(SKIP_4) | instid1(VALU_DEP_4)
	v_add_f32_e32 v34, v37, v39
	v_sub_f32_e32 v36, v6, v5
	v_dual_add_f32 v11, v2, v15 :: v_dual_sub_f32 v14, v35, v29
	v_add_f32_e32 v30, v35, v29
	v_add_f32_e32 v22, v27, v21
	v_mul_f32_e32 v50, 0xbf7d64f0, v36
	v_sub_f32_e32 v12, v33, v31
	v_sub_f32_e32 v8, v25, v23
	v_fma_f32 v3, v13, v28, -v47
	v_add_f32_e32 v19, v25, v23
	v_sub_f32_e32 v28, v2, v15
	v_add_f32_e32 v1, v74, v1
	s_delay_alu instid0(VALU_DEP_4)
	v_dual_add_f32 v25, v73, v25 :: v_dual_sub_f32 v32, v4, v3
	v_dual_mul_f32 v53, 0x3f575c64, v11 :: v_dual_mul_f32 v92, 0x3f575c64, v16
	v_mul_f32_e32 v47, 0x3f0a6770, v24
	v_dual_mul_f32 v48, 0xbf4178ce, v28 :: v_dual_add_f32 v13, v4, v3
	v_mul_f32_e32 v52, 0xbe11bafb, v9
	v_mul_f32_e32 v58, 0xbf0a6770, v28
	v_dual_mul_f32 v51, 0xbf27a4f4, v7 :: v_dual_add_f32 v0, v1, v0
	v_dual_mul_f32 v84, 0x3e903f40, v24 :: v_dual_add_f32 v1, v25, v27
	v_mul_f32_e32 v88, 0x3ed4b147, v7
	v_dual_mul_f32 v43, 0xbf27a4f4, v11 :: v_dual_mul_f32 v82, 0xbf27a4f4, v16
	v_dual_mul_f32 v44, 0x3ed4b147, v13 :: v_dual_sub_f32 v17, v37, v39
	v_mul_f32_e32 v54, 0xbf75a155, v13
	v_dual_mul_f32 v55, 0x3ed4b147, v16 :: v_dual_mul_f32 v80, 0x3ed4b147, v11
	v_mul_f32_e32 v57, 0x3f7d64f0, v24
	v_mul_f32_e32 v45, 0xbe11bafb, v16
	v_dual_mul_f32 v75, 0x3f68dda4, v36 :: v_dual_add_f32 v0, v0, v2
	v_dual_mul_f32 v79, 0xbf75a155, v9 :: v_dual_mul_f32 v90, 0xbf75a155, v11
	v_dual_mul_f32 v86, 0xbf0a6770, v32 :: v_dual_fmamk_f32 v27, v10, 0xbf0a6770, v42
	v_dual_mul_f32 v93, 0xbf68dda4, v20 :: v_dual_fmamk_f32 v110, v17, 0xbf68dda4, v55
	v_dual_mul_f32 v94, 0xbf4178ce, v24 :: v_dual_add_f32 v1, v1, v33
	v_mul_f32_e32 v89, 0xbf27a4f4, v9
	s_delay_alu instid0(VALU_DEP_4)
	v_dual_mul_f32 v7, 0x3f575c64, v7 :: v_dual_fmamk_f32 v124, v30, 0x3f575c64, v86
	v_mul_f32_e32 v9, 0x3ed4b147, v9
	v_dual_mul_f32 v49, 0x3f68dda4, v32 :: v_dual_fmamk_f32 v126, v8, 0x3f68dda4, v88
	v_dual_mul_f32 v98, 0xbf75a155, v16 :: v_dual_fmamk_f32 v101, v19, 0xbf75a155, v46
	v_fmamk_f32 v108, v12, 0x3f0a6770, v53
	v_dual_mul_f32 v81, 0x3f575c64, v13 :: v_dual_fmamk_f32 v102, v22, 0x3f575c64, v47
	v_mul_f32_e32 v16, 0xbf0a6770, v20
	v_fmamk_f32 v111, v19, 0xbf27a4f4, v56
	v_fmamk_f32 v25, v8, 0x3e903f40, v38
	v_mul_f32_e32 v83, 0xbf7d64f0, v20
	v_dual_mul_f32 v20, 0xbf68dda4, v24 :: v_dual_fmamk_f32 v99, v14, 0xbf68dda4, v44
	v_fmac_f32_e32 v38, 0xbe903f40, v8
	v_dual_mul_f32 v59, 0xbe903f40, v32 :: v_dual_fmamk_f32 v128, v12, 0xbe903f40, v90
	v_mul_f32_e32 v96, 0x3f7d64f0, v32
	v_mul_f32_e32 v91, 0xbe11bafb, v13
	v_dual_mul_f32 v97, 0x3f0a6770, v36 :: v_dual_fmamk_f32 v136, v8, 0x3f0a6770, v7
	v_dual_fmamk_f32 v106, v8, 0x3f4178ce, v51 :: v_dual_add_f32 v1, v1, v35
	v_dual_fmamk_f32 v109, v14, 0x3e903f40, v54 :: v_dual_add_f32 v0, v0, v4
	v_fmamk_f32 v112, v22, 0xbe11bafb, v57
	v_fmamk_f32 v100, v17, 0x3f7d64f0, v45
	v_dual_fmamk_f32 v119, v14, 0x3f0a6770, v81 :: v_dual_fmac_f32 v42, 0x3f0a6770, v10
	v_dual_fmamk_f32 v131, v19, 0x3ed4b147, v93 :: v_dual_fmamk_f32 v142, v22, 0x3ed4b147, v20
	v_fmamk_f32 v103, v26, 0xbf27a4f4, v48
	v_fma_f32 v2, 0xbf75a155, v19, -v46
	v_fma_f32 v46, 0xbf27a4f4, v26, -v48
	;; [unrolled: 1-line block ×3, first 2 shown]
	v_fmac_f32_e32 v81, 0xbf0a6770, v14
	v_dual_fmamk_f32 v141, v19, 0x3f575c64, v16 :: v_dual_add_f32 v4, v74, v38
	v_fmamk_f32 v105, v34, 0xbe11bafb, v50
	v_fma_f32 v50, 0xbe11bafb, v22, -v57
	v_fmac_f32_e32 v7, 0xbf0a6770, v8
	v_dual_mul_f32 v85, 0x3f68dda4, v28 :: v_dual_fmac_f32 v44, 0x3f68dda4, v14
	v_mul_f32_e32 v87, 0xbf4178ce, v36
	v_dual_mul_f32 v95, 0x3e903f40, v28 :: v_dual_fmamk_f32 v140, v17, 0x3e903f40, v98
	v_dual_mul_f32 v24, 0xbf7d64f0, v28 :: v_dual_fmamk_f32 v107, v10, 0xbf7d64f0, v52
	v_dual_fmamk_f32 v113, v26, 0x3f575c64, v58 :: v_dual_add_f32 v2, v73, v2
	v_fmamk_f32 v116, v8, 0x3f7d64f0, v76
	v_fmamk_f32 v132, v22, 0xbf27a4f4, v94
	v_mul_f32_e32 v28, 0xbf4178ce, v32
	v_dual_mul_f32 v32, 0xbe903f40, v36 :: v_dual_fmamk_f32 v117, v10, 0xbe903f40, v79
	v_dual_fmamk_f32 v120, v17, 0x3f4178ce, v82 :: v_dual_fmamk_f32 v127, v10, 0x3f4178ce, v89
	v_fmamk_f32 v134, v30, 0xbe11bafb, v96
	v_dual_fmamk_f32 v129, v14, 0xbf7d64f0, v91 :: v_dual_fmac_f32 v76, 0xbf7d64f0, v8
	v_fma_f32 v33, 0x3f575c64, v22, -v47
	v_fma_f32 v47, 0x3ed4b147, v30, -v49
	v_dual_fmac_f32 v52, 0x3f7d64f0, v10 :: v_dual_add_f32 v7, v74, v7
	v_fmac_f32_e32 v51, 0xbf4178ce, v8
	v_fma_f32 v57, 0xbf75a155, v30, -v59
	v_fmac_f32_e32 v88, 0xbf68dda4, v8
	v_fmac_f32_e32 v89, 0xbf4178ce, v10
	v_dual_mul_f32 v13, 0xbf27a4f4, v13 :: v_dual_fmamk_f32 v144, v30, 0xbf27a4f4, v28
	v_fma_f32 v8, 0x3f575c64, v19, -v16
	v_fmamk_f32 v115, v34, 0x3ed4b147, v75
	v_dual_add_f32 v16, v74, v25 :: v_dual_fmamk_f32 v121, v19, 0xbe11bafb, v83
	v_fmamk_f32 v104, v30, 0x3ed4b147, v49
	v_fma_f32 v49, 0xbf27a4f4, v19, -v56
	v_fmamk_f32 v114, v30, 0xbf75a155, v59
	v_fma_f32 v56, 0x3f575c64, v26, -v58
	v_fma_f32 v58, 0x3ed4b147, v34, -v75
	;; [unrolled: 1-line block ×3, first 2 shown]
	v_dual_add_f32 v35, v73, v49 :: v_dual_fmamk_f32 v122, v22, 0xbf75a155, v84
	v_fma_f32 v75, 0xbf75a155, v22, -v84
	v_fma_f32 v84, 0x3f575c64, v30, -v86
	s_delay_alu instid0(VALU_DEP_4)
	v_add_f32_e32 v49, v73, v59
	v_fma_f32 v86, 0x3ed4b147, v19, -v93
	v_add_f32_e32 v19, v74, v106
	v_mul_f32_e32 v11, 0xbe11bafb, v11
	v_fmamk_f32 v36, v12, 0x3f4178ce, v43
	v_fmamk_f32 v118, v12, 0xbf68dda4, v80
	v_dual_fmamk_f32 v123, v26, 0x3ed4b147, v85 :: v_dual_add_f32 v16, v27, v16
	v_dual_fmamk_f32 v130, v17, 0xbf0a6770, v92 :: v_dual_fmac_f32 v53, 0xbf0a6770, v12
	v_dual_fmamk_f32 v137, v10, 0x3f68dda4, v9 :: v_dual_fmac_f32 v80, 0x3f68dda4, v12
	v_fmamk_f32 v139, v14, 0x3f4178ce, v13
	v_dual_fmamk_f32 v143, v26, 0xbe11bafb, v24 :: v_dual_add_f32 v0, v0, v6
	v_dual_fmamk_f32 v145, v34, 0xbf75a155, v32 :: v_dual_add_f32 v2, v33, v2
	v_fmac_f32_e32 v43, 0xbf4178ce, v12
	v_dual_fmac_f32 v45, 0xbf7d64f0, v17 :: v_dual_add_f32 v38, v74, v76
	v_dual_fmac_f32 v79, 0x3e903f40, v10 :: v_dual_fmac_f32 v90, 0x3e903f40, v12
	v_fmac_f32_e32 v82, 0xbf4178ce, v17
	v_fmamk_f32 v125, v34, 0xbf27a4f4, v87
	v_fma_f32 v83, 0x3ed4b147, v26, -v85
	v_fma_f32 v85, 0xbf27a4f4, v34, -v87
	v_fmac_f32_e32 v91, 0x3f7d64f0, v14
	v_fmac_f32_e32 v92, 0x3f0a6770, v17
	v_fma_f32 v87, 0xbf27a4f4, v22, -v94
	v_fma_f32 v93, 0xbf75a155, v26, -v95
	;; [unrolled: 1-line block ×3, first 2 shown]
	v_fmac_f32_e32 v9, 0xbf68dda4, v10
	v_dual_fmac_f32 v13, 0xbf4178ce, v14 :: v_dual_add_f32 v4, v42, v4
	v_dual_fmac_f32 v98, 0xbe903f40, v17 :: v_dual_add_f32 v33, v79, v38
	v_fma_f32 v10, 0x3ed4b147, v22, -v20
	v_fma_f32 v20, 0xbf75a155, v34, -v32
	v_add_f32_e32 v32, v73, v141
	v_fmac_f32_e32 v55, 0x3f68dda4, v17
	v_dual_add_f32 v17, v73, v101 :: v_dual_fmac_f32 v54, 0xbe903f40, v14
	v_fma_f32 v14, 0xbf27a4f4, v30, -v28
	v_add_f32_e32 v28, v73, v131
	v_add_f32_e32 v30, v74, v136
	s_delay_alu instid0(VALU_DEP_4)
	v_add_f32_e32 v17, v102, v17
	v_add_f32_e32 v25, v73, v121
	v_dual_add_f32 v19, v107, v19 :: v_dual_fmamk_f32 v138, v12, 0x3f7d64f0, v11
	v_fmac_f32_e32 v11, 0xbf7d64f0, v12
	v_fma_f32 v12, 0xbe11bafb, v26, -v24
	v_add_f32_e32 v24, v74, v116
	v_fmamk_f32 v133, v26, 0xbf75a155, v95
	v_add_f32_e32 v26, v74, v126
	v_dual_add_f32 v22, v73, v111 :: v_dual_fmamk_f32 v135, v34, 0x3f575c64, v97
	v_fma_f32 v95, 0x3f575c64, v34, -v97
	v_add_f32_e32 v34, v74, v51
	s_delay_alu instid0(VALU_DEP_4)
	v_dual_add_f32 v26, v127, v26 :: v_dual_add_f32 v51, v74, v88
	v_add_f32_e32 v59, v73, v86
	v_add_f32_e32 v8, v73, v8
	;; [unrolled: 1-line block ×3, first 2 shown]
	v_dual_add_f32 v24, v117, v24 :: v_dual_add_f32 v25, v122, v25
	v_dual_add_f32 v27, v132, v28 :: v_dual_add_f32 v28, v137, v30
	;; [unrolled: 1-line block ×3, first 2 shown]
	v_add_f32_e32 v8, v10, v8
	v_add_f32_e32 v6, v52, v34
	;; [unrolled: 1-line block ×3, first 2 shown]
	v_dual_add_f32 v34, v75, v49 :: v_dual_add_f32 v35, v89, v51
	v_add_f32_e32 v10, v103, v17
	v_add_f32_e32 v37, v87, v59
	;; [unrolled: 1-line block ×3, first 2 shown]
	v_dual_add_f32 v9, v36, v16 :: v_dual_add_f32 v2, v46, v2
	v_dual_add_f32 v16, v108, v19 :: v_dual_add_f32 v17, v113, v22
	;; [unrolled: 1-line block ×3, first 2 shown]
	v_add_f32_e32 v22, v123, v25
	v_dual_add_f32 v24, v128, v26 :: v_dual_add_f32 v25, v133, v27
	v_add_f32_e32 v4, v43, v4
	v_dual_add_f32 v26, v138, v28 :: v_dual_add_f32 v27, v143, v30
	v_dual_add_f32 v1, v1, v39 :: v_dual_add_f32 v28, v80, v33
	;; [unrolled: 1-line block ×3, first 2 shown]
	v_add_f32_e32 v32, v90, v35
	v_dual_add_f32 v30, v83, v34 :: v_dual_add_f32 v33, v93, v37
	v_dual_add_f32 v7, v11, v7 :: v_dual_add_f32 v8, v12, v8
	;; [unrolled: 1-line block ×11, first 2 shown]
	v_add_f32_e32 v38, v14, v8
	v_dual_add_f32 v2, v115, v12 :: v_dual_add_f32 v7, v130, v19
	v_dual_add_f32 v5, v120, v16 :: v_dual_add_f32 v4, v125, v17
	v_add_f32_e32 v16, v26, v15
	v_dual_add_f32 v19, v27, v31 :: v_dual_add_f32 v28, v81, v28
	v_dual_add_f32 v33, v94, v33 :: v_dual_add_f32 v32, v91, v32
	;; [unrolled: 1-line block ×4, first 2 shown]
	v_add_f32_e32 v9, v140, v24
	v_dual_add_f32 v11, v45, v29 :: v_dual_add_f32 v22, v16, v18
	v_add_f32_e32 v24, v19, v21
	v_add_f32_e32 v19, v98, v37
	v_dual_add_f32 v8, v145, v25 :: v_dual_add_f32 v13, v55, v35
	v_dual_add_f32 v10, v48, v34 :: v_dual_add_f32 v15, v82, v28
	v_add_f32_e32 v12, v58, v36
	v_dual_add_f32 v14, v85, v30 :: v_dual_add_f32 v17, v92, v32
	v_add_f32_e32 v16, v95, v33
	;; [unrolled: 2-line block ×3, first 2 shown]
	ds_store_2addr_b64 v40, v[6:7], v[4:5] offset0:4 offset1:6
	ds_store_2addr_b64 v40, v[2:3], v[0:1] offset0:8 offset1:10
	;; [unrolled: 1-line block ×4, first 2 shown]
	ds_store_2addr_b64 v40, v[20:21], v[8:9] offset1:2
	ds_store_b64 v40, v[18:19] offset:160
.LBB0_16:
	s_wait_alu 0xfffe
	s_or_b32 exec_lo, exec_lo, s1
	v_lshrrev_b16 v0, 1, v62
	v_lshrrev_b16 v1, 1, v64
	global_wb scope:SCOPE_SE
	s_wait_dscnt 0x0
	s_barrier_signal -1
	s_barrier_wait -1
	v_and_b32_e32 v0, 0x7f, v0
	global_inv scope:SCOPE_SE
	v_add3_u32 v2, 0, v71, v69
	v_mul_u32_u24_e32 v57, 6, v62
	s_mov_b32 s1, exec_lo
	v_mul_lo_u16 v0, 0xbb, v0
	s_delay_alu instid0(VALU_DEP_1) | instskip(SKIP_1) | instid1(VALU_DEP_2)
	v_lshrrev_b16 v43, 11, v0
	v_and_b32_e32 v0, 0x7f, v1
	v_mul_lo_u16 v1, v43, 22
	s_delay_alu instid0(VALU_DEP_2) | instskip(NEXT) | instid1(VALU_DEP_2)
	v_mul_lo_u16 v0, 0xbb, v0
	v_sub_nc_u16 v1, v62, v1
	s_delay_alu instid0(VALU_DEP_2) | instskip(NEXT) | instid1(VALU_DEP_2)
	v_lshrrev_b16 v44, 11, v0
	v_and_b32_e32 v55, 0xff, v1
	s_delay_alu instid0(VALU_DEP_2) | instskip(NEXT) | instid1(VALU_DEP_2)
	v_mul_lo_u16 v0, v44, 22
	v_mul_u32_u24_e32 v1, 6, v55
	s_delay_alu instid0(VALU_DEP_2) | instskip(NEXT) | instid1(VALU_DEP_2)
	v_sub_nc_u16 v0, v64, v0
	v_lshlrev_b32_e32 v1, 3, v1
	s_clause 0x1
	global_load_b128 v[7:10], v1, s[8:9] offset:160
	global_load_b128 v[11:14], v1, s[8:9] offset:176
	v_and_b32_e32 v56, 0xff, v0
	v_lshlrev_b32_e32 v31, 3, v72
	v_lshlrev_b32_e32 v33, 3, v68
	v_add_nc_u32_e32 v5, 0x1400, v65
	s_delay_alu instid0(VALU_DEP_4) | instskip(NEXT) | instid1(VALU_DEP_4)
	v_mul_u32_u24_e32 v0, 6, v56
	v_add3_u32 v59, 0, v31, v69
	s_delay_alu instid0(VALU_DEP_4) | instskip(NEXT) | instid1(VALU_DEP_3)
	v_add3_u32 v75, 0, v33, v69
	v_lshlrev_b32_e32 v0, 3, v0
	s_clause 0x3
	global_load_b128 v[15:18], v1, s[8:9] offset:192
	global_load_b128 v[19:22], v0, s[8:9] offset:160
	;; [unrolled: 1-line block ×4, first 2 shown]
	v_lshlrev_b32_e32 v32, 3, v70
	v_add_nc_u32_e32 v6, 0x1000, v65
	v_add_nc_u32_e32 v4, 0x1800, v65
	ds_load_b64 v[47:48], v78
	v_mul_i32_i24_e32 v0, 6, v64
	v_add3_u32 v71, 0, v32, v69
	ds_load_2addr_b64 v[31:34], v6 offset0:27 offset1:104
	ds_load_2addr_b64 v[35:38], v5 offset0:53 offset1:130
	;; [unrolled: 1-line block ×3, first 2 shown]
	ds_load_b64 v[49:50], v59
	ds_load_b64 v[51:52], v71
	v_add_nc_u32_e32 v3, 0x600, v65
	v_and_b32_e32 v58, 0xffff, v43
	v_and_b32_e32 v73, 0xffff, v44
	v_mov_b32_e32 v1, 0
	v_lshlrev_b32_e32 v81, 3, v55
	s_delay_alu instid0(VALU_DEP_3)
	v_mad_u32_u24 v80, 0x4d0, v73, 0
	s_wait_loadcnt_dscnt 0x302
	v_mul_f32_e32 v84, v42, v18
	v_mul_f32_e32 v83, v38, v16
	;; [unrolled: 1-line block ×3, first 2 shown]
	ds_load_b64 v[53:54], v75
	ds_load_2addr_b64 v[43:46], v3 offset0:39 offset1:193
	s_wait_loadcnt 0x0
	v_mul_f32_e32 v89, v40, v28
	v_mad_u32_u24 v79, 0x4d0, v58, 0
	v_dual_fmac_f32 v83, v37, v15 :: v_dual_lshlrev_b32 v76, 3, v57
	v_lshlrev_b32_e32 v82, 3, v56
	v_lshlrev_b64_e32 v[55:56], 3, v[0:1]
	ds_load_b64 v[57:58], v2
	ds_load_b64 v[73:74], v65 offset:8008
	v_add3_u32 v0, v79, v81, v69
	s_wait_dscnt 0x5
	v_mul_f32_e32 v79, v8, v50
	v_mul_f32_e32 v8, v8, v49
	;; [unrolled: 1-line block ×3, first 2 shown]
	global_wb scope:SCOPE_SE
	s_wait_dscnt 0x0
	s_barrier_signal -1
	v_fmac_f32_e32 v79, v7, v49
	v_fma_f32 v7, v7, v50, -v8
	v_dual_fmac_f32 v87, v31, v23 :: v_dual_fmac_f32 v84, v41, v17
	v_mul_f32_e32 v88, v36, v26
	v_mul_f32_e32 v81, v12, v54
	;; [unrolled: 1-line block ×3, first 2 shown]
	v_dual_mul_f32 v86, v46, v22 :: v_dual_mul_f32 v85, v44, v20
	v_dual_mul_f32 v22, v45, v22 :: v_dual_fmac_f32 v89, v39, v27
	s_delay_alu instid0(VALU_DEP_4)
	v_fmac_f32_e32 v81, v11, v53
	v_add3_u32 v69, v80, v82, v69
	v_mul_f32_e32 v80, v10, v52
	v_mul_f32_e32 v10, v10, v51
	v_mul_f32_e32 v82, v14, v34
	v_mul_f32_e32 v14, v14, v33
	v_fmac_f32_e32 v86, v45, v21
	v_fmac_f32_e32 v80, v9, v51
	v_mul_f32_e32 v20, v43, v20
	v_fma_f32 v8, v9, v52, -v10
	v_fma_f32 v9, v11, v54, -v12
	v_fmac_f32_e32 v82, v13, v33
	v_mul_f32_e32 v24, v31, v24
	v_fma_f32 v11, v38, v15, -v16
	v_dual_mul_f32 v18, v41, v18 :: v_dual_fmac_f32 v85, v43, v19
	v_fma_f32 v10, v13, v34, -v14
	v_fma_f32 v14, v46, v21, -v22
	s_delay_alu instid0(VALU_DEP_4)
	v_add_f32_e32 v22, v8, v11
	v_dual_sub_f32 v8, v8, v11 :: v_dual_add_f32 v11, v81, v82
	v_fma_f32 v15, v32, v23, -v24
	v_sub_f32_e32 v23, v80, v83
	v_fma_f32 v13, v44, v19, -v20
	v_add_f32_e32 v19, v79, v84
	v_fmac_f32_e32 v88, v35, v25
	v_mul_f32_e32 v28, v39, v28
	v_fma_f32 v12, v42, v17, -v18
	v_dual_add_f32 v24, v9, v10 :: v_dual_sub_f32 v9, v10, v9
	s_delay_alu instid0(VALU_DEP_4)
	v_dual_sub_f32 v31, v88, v87 :: v_dual_mul_f32 v90, v74, v30
	v_sub_f32_e32 v21, v79, v84
	v_fma_f32 v17, v40, v27, -v28
	v_mul_f32_e32 v30, v73, v30
	v_add_f32_e32 v20, v7, v12
	v_dual_fmac_f32 v90, v73, v29 :: v_dual_sub_f32 v7, v7, v12
	s_delay_alu instid0(VALU_DEP_4) | instskip(NEXT) | instid1(VALU_DEP_4)
	v_add_f32_e32 v28, v14, v17
	v_fma_f32 v18, v74, v29, -v30
	s_barrier_wait -1
	s_delay_alu instid0(VALU_DEP_3) | instskip(SKIP_4) | instid1(VALU_DEP_1)
	v_dual_sub_f32 v27, v85, v90 :: v_dual_sub_f32 v14, v14, v17
	v_add_f32_e32 v17, v87, v88
	v_mul_f32_e32 v26, v35, v26
	global_inv scope:SCOPE_SE
	v_fma_f32 v16, v36, v25, -v26
	v_dual_sub_f32 v25, v82, v81 :: v_dual_add_f32 v30, v15, v16
	v_sub_f32_e32 v15, v16, v15
	v_dual_sub_f32 v29, v86, v89 :: v_dual_add_f32 v12, v80, v83
	v_add_f32_e32 v26, v13, v18
	v_dual_sub_f32 v13, v13, v18 :: v_dual_add_f32 v18, v86, v89
	v_add_f32_e32 v35, v25, v23
	v_sub_f32_e32 v37, v25, v23
	v_dual_sub_f32 v25, v21, v25 :: v_dual_add_f32 v16, v12, v19
	v_sub_f32_e32 v45, v31, v29
	v_sub_f32_e32 v33, v12, v19
	v_dual_sub_f32 v23, v23, v21 :: v_dual_add_f32 v10, v85, v90
	v_sub_f32_e32 v39, v8, v7
	v_sub_f32_e32 v19, v19, v11
	;; [unrolled: 1-line block ×3, first 2 shown]
	v_add_f32_e32 v36, v9, v8
	s_delay_alu instid0(VALU_DEP_4)
	v_dual_sub_f32 v38, v9, v8 :: v_dual_mul_f32 v49, 0xbf5ff5aa, v39
	v_dual_sub_f32 v9, v7, v9 :: v_dual_add_f32 v32, v22, v20
	v_sub_f32_e32 v34, v22, v20
	v_dual_sub_f32 v22, v24, v22 :: v_dual_add_f32 v11, v11, v16
	v_dual_add_f32 v43, v31, v29 :: v_dual_add_f32 v8, v18, v10
	v_dual_sub_f32 v20, v20, v24 :: v_dual_add_f32 v21, v35, v21
	v_sub_f32_e32 v41, v18, v10
	v_dual_sub_f32 v42, v28, v26 :: v_dual_mul_f32 v45, 0x3f08b237, v45
	v_sub_f32_e32 v10, v10, v17
	v_dual_sub_f32 v18, v17, v18 :: v_dual_sub_f32 v31, v27, v31
	v_dual_add_f32 v44, v15, v14 :: v_dual_sub_f32 v29, v29, v27
	v_mul_f32_e32 v19, 0x3f4a47b2, v19
	v_mul_f32_e32 v35, 0x3d64c772, v22
	v_dual_add_f32 v27, v43, v27 :: v_dual_add_f32 v40, v28, v26
	v_dual_add_f32 v17, v17, v8 :: v_dual_sub_f32 v46, v15, v14
	v_dual_sub_f32 v15, v13, v15 :: v_dual_sub_f32 v14, v14, v13
	v_add_f32_e32 v16, v24, v32
	v_add_f32_e32 v24, v36, v7
	v_dual_add_f32 v7, v11, v47 :: v_dual_sub_f32 v28, v30, v28
	v_mul_f32_e32 v43, 0x3d64c772, v18
	v_fma_f32 v35, 0x3f3bfb3b, v34, -v35
	s_delay_alu instid0(VALU_DEP_3) | instskip(SKIP_3) | instid1(VALU_DEP_1)
	v_fmamk_f32 v11, v11, 0xbf955555, v7
	v_mul_f32_e32 v32, 0x3d64c772, v12
	v_fmamk_f32 v12, v12, 0x3d64c772, v19
	v_fma_f32 v19, 0xbf3bfb3b, v33, -v19
	v_dual_mul_f32 v20, 0x3f4a47b2, v20 :: v_dual_add_f32 v19, v19, v11
	s_delay_alu instid0(VALU_DEP_4) | instskip(SKIP_1) | instid1(VALU_DEP_1)
	v_fma_f32 v32, 0x3f3bfb3b, v33, -v32
	v_dual_mul_f32 v36, 0x3f08b237, v37 :: v_dual_mul_f32 v37, 0x3f08b237, v38
	v_dual_fmamk_f32 v33, v25, 0xbeae86e6, v36 :: v_dual_sub_f32 v26, v26, v30
	v_dual_add_f32 v13, v44, v13 :: v_dual_mul_f32 v44, 0x3d64c772, v28
	s_delay_alu instid0(VALU_DEP_2) | instskip(NEXT) | instid1(VALU_DEP_3)
	v_dual_add_f32 v30, v30, v40 :: v_dual_fmac_f32 v33, 0xbee1c552, v21
	v_mul_f32_e32 v26, 0x3f4a47b2, v26
	v_mul_f32_e32 v40, 0x3f4a47b2, v10
	s_delay_alu instid0(VALU_DEP_2)
	v_fmamk_f32 v28, v28, 0x3d64c772, v26
	v_mul_f32_e32 v38, 0xbf5ff5aa, v23
	v_fma_f32 v23, 0xbf5ff5aa, v23, -v36
	v_fma_f32 v36, 0xbf5ff5aa, v39, -v37
	v_fmamk_f32 v18, v18, 0x3d64c772, v40
	v_fma_f32 v40, 0xbf3bfb3b, v41, -v40
	v_fma_f32 v25, 0x3eae86e6, v25, -v38
	;; [unrolled: 1-line block ×4, first 2 shown]
	v_add_f32_e32 v10, v30, v58
	v_fma_f32 v26, 0xbf3bfb3b, v42, -v26
	v_fmac_f32_e32 v25, 0xbee1c552, v21
	v_fmamk_f32 v41, v31, 0xbeae86e6, v45
	v_dual_mul_f32 v51, 0xbf5ff5aa, v14 :: v_dual_add_f32 v8, v16, v48
	v_dual_fmac_f32 v23, 0xbee1c552, v21 :: v_dual_fmac_f32 v36, 0xbee1c552, v24
	v_fmac_f32_e32 v43, 0xbee1c552, v27
	v_dual_mul_f32 v50, 0xbf5ff5aa, v29 :: v_dual_add_f32 v21, v12, v11
	v_fmamk_f32 v22, v22, 0x3d64c772, v20
	v_fma_f32 v20, 0xbf3bfb3b, v34, -v20
	v_fmamk_f32 v34, v9, 0xbeae86e6, v37
	v_fma_f32 v37, 0x3eae86e6, v9, -v49
	v_dual_add_f32 v9, v17, v57 :: v_dual_mul_f32 v46, 0x3f08b237, v46
	v_fma_f32 v39, 0x3f3bfb3b, v42, -v44
	v_fma_f32 v44, 0x3eae86e6, v31, -v50
	;; [unrolled: 1-line block ×3, first 2 shown]
	v_dual_fmac_f32 v34, 0xbee1c552, v24 :: v_dual_fmac_f32 v41, 0xbee1c552, v27
	v_fma_f32 v29, 0xbf5ff5aa, v14, -v46
	v_fmamk_f32 v14, v16, 0xbf955555, v8
	v_fmac_f32_e32 v44, 0xbee1c552, v27
	v_add_nc_u32_e32 v57, 0x1200, v2
	s_delay_alu instid0(VALU_DEP_4) | instskip(SKIP_4) | instid1(VALU_DEP_3)
	v_fmac_f32_e32 v29, 0xbee1c552, v13
	v_fmamk_f32 v42, v15, 0xbeae86e6, v46
	v_dual_fmamk_f32 v15, v17, 0xbf955555, v9 :: v_dual_fmamk_f32 v16, v30, 0xbf955555, v10
	v_add_f32_e32 v17, v32, v11
	v_dual_add_f32 v20, v20, v14 :: v_dual_add_f32 v11, v34, v21
	v_add_f32_e32 v30, v38, v15
	v_dual_add_f32 v38, v40, v15 :: v_dual_sub_f32 v21, v21, v34
	s_delay_alu instid0(VALU_DEP_2)
	v_sub_f32_e32 v27, v30, v29
	v_dual_fmac_f32 v37, 0xbee1c552, v24 :: v_dual_fmac_f32 v42, 0xbee1c552, v13
	v_dual_add_f32 v24, v35, v14 :: v_dual_add_f32 v35, v18, v15
	v_sub_f32_e32 v15, v17, v36
	v_add_f32_e32 v17, v36, v17
	v_dual_fmac_f32 v31, 0xbee1c552, v13 :: v_dual_add_f32 v22, v22, v14
	v_sub_f32_e32 v14, v20, v25
	v_add_f32_e32 v20, v25, v20
	v_add_f32_e32 v13, v37, v19
	s_delay_alu instid0(VALU_DEP_4)
	v_dual_add_f32 v25, v31, v38 :: v_dual_sub_f32 v12, v22, v33
	v_add_f32_e32 v22, v33, v22
	v_sub_f32_e32 v33, v35, v42
	v_add_f32_e32 v29, v29, v30
	v_add_f32_e32 v45, v28, v16
	;; [unrolled: 1-line block ×4, first 2 shown]
	v_dual_sub_f32 v31, v38, v31 :: v_dual_add_f32 v16, v23, v24
	v_dual_sub_f32 v18, v24, v23 :: v_dual_sub_f32 v19, v19, v37
	v_dual_add_f32 v23, v42, v35 :: v_dual_sub_f32 v24, v45, v41
	s_delay_alu instid0(VALU_DEP_4)
	v_sub_f32_e32 v26, v39, v44
	v_add_f32_e32 v28, v43, v32
	v_sub_f32_e32 v30, v32, v43
	v_add_f32_e32 v32, v44, v39
	v_add_f32_e32 v34, v41, v45
	ds_store_2addr_b64 v0, v[7:8], v[11:12] offset1:22
	ds_store_2addr_b64 v0, v[13:14], v[15:16] offset0:44 offset1:66
	ds_store_2addr_b64 v0, v[17:18], v[19:20] offset0:88 offset1:110
	ds_store_b64 v0, v[21:22] offset:1056
	ds_store_2addr_b64 v69, v[9:10], v[23:24] offset1:22
	ds_store_2addr_b64 v69, v[25:26], v[27:28] offset0:44 offset1:66
	ds_store_2addr_b64 v69, v[29:30], v[31:32] offset0:88 offset1:110
	ds_store_b64 v69, v[33:34] offset:1056
	v_add_co_u32 v27, s0, s8, v55
	s_wait_alu 0xf1ff
	v_add_co_ci_u32_e64 v28, s0, s9, v56, s0
	global_wb scope:SCOPE_SE
	s_wait_dscnt 0x0
	s_barrier_signal -1
	s_barrier_wait -1
	global_inv scope:SCOPE_SE
	s_clause 0x5
	global_load_b128 v[7:10], v76, s[8:9] offset:1216
	global_load_b128 v[11:14], v76, s[8:9] offset:1232
	;; [unrolled: 1-line block ×3, first 2 shown]
	global_load_b128 v[19:22], v[27:28], off offset:1216
	global_load_b128 v[23:26], v[27:28], off offset:1232
	global_load_b128 v[27:30], v[27:28], off offset:1248
	ds_load_b64 v[43:44], v59
	ds_load_b64 v[45:46], v71
	;; [unrolled: 1-line block ×3, first 2 shown]
	ds_load_2addr_b64 v[31:34], v6 offset0:27 offset1:104
	ds_load_2addr_b64 v[35:38], v5 offset0:53 offset1:130
	;; [unrolled: 1-line block ×4, first 2 shown]
	ds_load_b64 v[49:50], v78
	ds_load_b64 v[51:52], v2
	ds_load_b64 v[53:54], v65 offset:8008
	v_add_nc_u32_e32 v0, 0x800, v65
	v_add_nc_u32_e32 v55, 0x1200, v65
	global_wb scope:SCOPE_SE
	s_wait_loadcnt_dscnt 0x0
	s_barrier_signal -1
	s_barrier_wait -1
	global_inv scope:SCOPE_SE
	v_mul_f32_e32 v73, v16, v38
	v_mul_f32_e32 v59, v10, v46
	;; [unrolled: 1-line block ×9, first 2 shown]
	v_fmac_f32_e32 v59, v9, v45
	v_fmac_f32_e32 v79, v31, v23
	;; [unrolled: 1-line block ×6, first 2 shown]
	v_mul_f32_e32 v20, v3, v20
	v_mul_f32_e32 v76, v6, v22
	;; [unrolled: 1-line block ×3, first 2 shown]
	v_dual_fmac_f32 v75, v3, v19 :: v_dual_add_nc_u32 v56, 0x800, v2
	v_mul_f32_e32 v8, v8, v43
	v_dual_mul_f32 v10, v10, v45 :: v_dual_fmac_f32 v81, v39, v27
	v_mul_f32_e32 v12, v12, v47
	v_fma_f32 v3, v4, v19, -v20
	v_fmac_f32_e32 v76, v5, v21
	v_mul_f32_e32 v74, v42, v18
	v_fma_f32 v4, v6, v21, -v22
	v_sub_f32_e32 v19, v59, v73
	v_sub_f32_e32 v21, v71, v69
	v_mul_f32_e32 v26, v35, v26
	v_mul_f32_e32 v24, v31, v24
	v_fmac_f32_e32 v58, v7, v43
	v_fma_f32 v7, v7, v44, -v8
	v_fma_f32 v8, v9, v46, -v10
	;; [unrolled: 1-line block ×3, first 2 shown]
	v_mul_f32_e32 v18, v41, v18
	v_add_f32_e32 v31, v21, v19
	v_fma_f32 v6, v36, v25, -v26
	v_sub_f32_e32 v25, v76, v81
	v_fmac_f32_e32 v74, v41, v17
	v_fma_f32 v12, v42, v17, -v18
	v_mul_f32_e32 v14, v14, v33
	v_dual_mul_f32 v28, v39, v28 :: v_dual_sub_f32 v33, v21, v19
	s_delay_alu instid0(VALU_DEP_4) | instskip(SKIP_2) | instid1(VALU_DEP_3)
	v_sub_f32_e32 v17, v58, v74
	v_mul_f32_e32 v82, v54, v30
	v_fma_f32 v5, v32, v23, -v24
	v_sub_f32_e32 v21, v17, v21
	s_delay_alu instid0(VALU_DEP_3) | instskip(SKIP_3) | instid1(VALU_DEP_4)
	v_fmac_f32_e32 v82, v53, v29
	v_mul_f32_e32 v16, v16, v37
	v_sub_f32_e32 v19, v19, v17
	v_add_f32_e32 v17, v31, v17
	v_sub_f32_e32 v23, v75, v82
	s_delay_alu instid0(VALU_DEP_4) | instskip(NEXT) | instid1(VALU_DEP_1)
	v_fma_f32 v11, v15, v38, -v16
	v_add_f32_e32 v18, v8, v11
	v_sub_f32_e32 v8, v8, v11
	v_add_f32_e32 v11, v69, v71
	v_fma_f32 v10, v13, v34, -v14
	v_fma_f32 v13, v40, v27, -v28
	s_delay_alu instid0(VALU_DEP_2) | instskip(SKIP_1) | instid1(VALU_DEP_2)
	v_dual_sub_f32 v27, v80, v79 :: v_dual_add_f32 v20, v9, v10
	v_sub_f32_e32 v9, v10, v9
	v_sub_f32_e32 v41, v27, v25
	v_add_f32_e32 v39, v27, v25
	v_sub_f32_e32 v27, v23, v27
	v_add_f32_e32 v10, v75, v82
	v_add_f32_e32 v32, v9, v8
	;; [unrolled: 1-line block ×3, first 2 shown]
	v_dual_sub_f32 v7, v7, v12 :: v_dual_mul_f32 v30, v53, v30
	v_sub_f32_e32 v34, v9, v8
	v_add_f32_e32 v12, v59, v73
	v_add_f32_e32 v24, v4, v13
	s_delay_alu instid0(VALU_DEP_4) | instskip(SKIP_3) | instid1(VALU_DEP_3)
	v_sub_f32_e32 v9, v7, v9
	v_fma_f32 v14, v54, v29, -v30
	v_dual_mul_f32 v31, 0x3f08b237, v34 :: v_dual_sub_f32 v8, v8, v7
	v_sub_f32_e32 v25, v25, v23
	v_dual_add_f32 v7, v32, v7 :: v_dual_add_f32 v22, v3, v14
	v_dual_sub_f32 v3, v3, v14 :: v_dual_add_f32 v14, v76, v81
	v_dual_add_f32 v26, v5, v6 :: v_dual_sub_f32 v5, v6, v5
	v_dual_add_f32 v28, v18, v16 :: v_dual_add_f32 v23, v39, v23
	s_delay_alu instid0(VALU_DEP_3) | instskip(SKIP_1) | instid1(VALU_DEP_4)
	v_add_f32_e32 v35, v14, v10
	v_dual_add_f32 v15, v58, v74 :: v_dual_sub_f32 v4, v4, v13
	v_sub_f32_e32 v43, v3, v5
	v_dual_add_f32 v13, v79, v80 :: v_dual_fmamk_f32 v46, v9, 0xbeae86e6, v31
	s_delay_alu instid0(VALU_DEP_3) | instskip(SKIP_3) | instid1(VALU_DEP_2)
	v_add_f32_e32 v6, v12, v15
	v_sub_f32_e32 v29, v12, v15
	v_dual_sub_f32 v15, v15, v11 :: v_dual_add_f32 v40, v5, v4
	v_mul_f32_e32 v39, 0x3f08b237, v41
	v_dual_mul_f32 v41, 0xbf5ff5aa, v25 :: v_dual_add_f32 v34, v40, v3
	s_delay_alu instid0(VALU_DEP_3) | instskip(SKIP_3) | instid1(VALU_DEP_3)
	v_dual_sub_f32 v42, v5, v4 :: v_dual_mul_f32 v5, 0x3f4a47b2, v15
	v_sub_f32_e32 v12, v11, v12
	v_dual_add_f32 v11, v11, v6 :: v_dual_fmac_f32 v46, 0xbee1c552, v7
	v_mul_f32_e32 v32, 0xbf5ff5aa, v19
	v_mul_f32_e32 v15, 0x3d64c772, v12
	v_sub_f32_e32 v37, v14, v10
	v_sub_f32_e32 v14, v13, v14
	;; [unrolled: 1-line block ×5, first 2 shown]
	v_add_f32_e32 v20, v20, v28
	v_fma_f32 v15, 0x3f3bfb3b, v29, -v15
	v_fma_f32 v29, 0xbf3bfb3b, v29, -v5
	v_mul_f32_e32 v28, 0x3f08b237, v33
	v_fmamk_f32 v12, v12, 0x3d64c772, v5
	s_delay_alu instid0(VALU_DEP_2)
	v_fmamk_f32 v45, v21, 0xbeae86e6, v28
	v_mul_f32_e32 v33, 0xbf5ff5aa, v8
	v_fma_f32 v19, 0xbf5ff5aa, v19, -v28
	v_fma_f32 v28, 0xbf5ff5aa, v8, -v31
	;; [unrolled: 1-line block ×3, first 2 shown]
	v_fmac_f32_e32 v45, 0xbee1c552, v17
	v_fma_f32 v31, 0x3eae86e6, v9, -v33
	v_dual_sub_f32 v10, v10, v13 :: v_dual_add_f32 v13, v13, v35
	v_dual_add_f32 v36, v24, v22 :: v_dual_fmac_f32 v19, 0xbee1c552, v17
	v_mul_f32_e32 v35, 0x3d64c772, v14
	v_fmac_f32_e32 v28, 0xbee1c552, v7
	s_delay_alu instid0(VALU_DEP_4) | instskip(SKIP_4) | instid1(VALU_DEP_4)
	v_add_f32_e32 v5, v13, v51
	v_dual_sub_f32 v44, v4, v3 :: v_dual_add_f32 v3, v11, v49
	v_sub_f32_e32 v38, v24, v22
	v_sub_f32_e32 v22, v22, v26
	v_dual_sub_f32 v24, v26, v24 :: v_dual_fmac_f32 v21, 0xbee1c552, v17
	v_fmamk_f32 v11, v11, 0xbf955555, v3
	v_mul_f32_e32 v6, 0x3f4a47b2, v16
	v_mul_f32_e32 v16, 0x3d64c772, v18
	v_fmac_f32_e32 v31, 0xbee1c552, v7
	v_fmamk_f32 v7, v13, 0xbf955555, v5
	v_dual_add_f32 v15, v15, v11 :: v_dual_mul_f32 v10, 0x3f4a47b2, v10
	v_mul_f32_e32 v40, 0x3f08b237, v42
	v_mul_f32_e32 v22, 0x3f4a47b2, v22
	v_dual_fmamk_f32 v32, v27, 0xbeae86e6, v39 :: v_dual_add_f32 v17, v12, v11
	s_delay_alu instid0(VALU_DEP_4)
	v_fmamk_f32 v8, v14, 0x3d64c772, v10
	v_fma_f32 v14, 0x3f3bfb3b, v37, -v35
	v_fma_f32 v35, 0xbf5ff5aa, v25, -v39
	;; [unrolled: 1-line block ×3, first 2 shown]
	v_add_f32_e32 v26, v26, v36
	v_dual_mul_f32 v36, 0x3d64c772, v24 :: v_dual_fmamk_f32 v9, v24, 0x3d64c772, v22
	v_fmac_f32_e32 v32, 0xbee1c552, v23
	v_fmac_f32_e32 v35, 0xbee1c552, v23
	v_fmamk_f32 v33, v43, 0xbeae86e6, v40
	s_delay_alu instid0(VALU_DEP_4) | instskip(SKIP_3) | instid1(VALU_DEP_3)
	v_fma_f32 v24, 0x3f3bfb3b, v38, -v36
	v_fma_f32 v36, 0x3eae86e6, v27, -v41
	;; [unrolled: 1-line block ×4, first 2 shown]
	v_fmac_f32_e32 v36, 0xbee1c552, v23
	v_dual_add_f32 v23, v29, v11 :: v_dual_mul_f32 v42, 0xbf5ff5aa, v44
	v_add_f32_e32 v29, v8, v7
	v_fma_f32 v10, 0xbf3bfb3b, v37, -v10
	v_sub_f32_e32 v11, v15, v28
	v_fmac_f32_e32 v33, 0xbee1c552, v34
	v_fma_f32 v27, 0x3eae86e6, v43, -v42
	v_add_f32_e32 v4, v20, v50
	v_fmac_f32_e32 v25, 0xbee1c552, v34
	v_add_f32_e32 v37, v10, v7
	v_fma_f32 v22, 0xbf3bfb3b, v38, -v22
	v_fmac_f32_e32 v27, 0xbee1c552, v34
	v_fmamk_f32 v18, v18, 0x3d64c772, v6
	v_add_f32_e32 v6, v26, v52
	v_fmamk_f32 v20, v20, 0xbf955555, v4
	s_delay_alu instid0(VALU_DEP_2) | instskip(NEXT) | instid1(VALU_DEP_2)
	v_fmamk_f32 v13, v26, 0xbf955555, v6
	v_add_f32_e32 v18, v18, v20
	v_add_f32_e32 v16, v16, v20
	;; [unrolled: 1-line block ×8, first 2 shown]
	v_dual_sub_f32 v8, v18, v45 :: v_dual_add_f32 v9, v31, v23
	v_sub_f32_e32 v10, v20, v21
	v_dual_add_f32 v12, v19, v16 :: v_dual_add_f32 v13, v28, v15
	v_sub_f32_e32 v14, v16, v19
	v_dual_sub_f32 v15, v23, v31 :: v_dual_add_f32 v16, v21, v20
	v_sub_f32_e32 v17, v17, v46
	v_add_f32_e32 v18, v45, v18
	v_dual_add_f32 v19, v33, v29 :: v_dual_sub_f32 v20, v30, v32
	v_dual_add_f32 v21, v27, v37 :: v_dual_sub_f32 v22, v38, v36
	v_sub_f32_e32 v23, v26, v25
	v_add_f32_e32 v25, v25, v26
	v_add_f32_e32 v24, v35, v34
	v_sub_f32_e32 v26, v34, v35
	v_dual_sub_f32 v27, v37, v27 :: v_dual_add_f32 v28, v36, v38
	v_dual_sub_f32 v29, v29, v33 :: v_dual_add_f32 v30, v32, v30
	ds_store_2addr_b64 v65, v[3:4], v[7:8] offset1:154
	ds_store_2addr_b64 v0, v[9:10], v[11:12] offset0:52 offset1:206
	ds_store_2addr_b64 v55, v[13:14], v[15:16] offset0:40 offset1:194
	ds_store_b64 v65, v[17:18] offset:7392
	ds_store_2addr_b64 v2, v[5:6], v[19:20] offset1:154
	ds_store_2addr_b64 v56, v[21:22], v[23:24] offset0:52 offset1:206
	ds_store_2addr_b64 v57, v[25:26], v[27:28] offset0:40 offset1:194
	ds_store_b64 v2, v[29:30] offset:7392
	global_wb scope:SCOPE_SE
	s_wait_dscnt 0x0
	s_barrier_signal -1
	s_barrier_wait -1
	global_inv scope:SCOPE_SE
	ds_load_b64 v[4:5], v78
	v_sub_nc_u32_e32 v0, v77, v63
                                        ; implicit-def: $vgpr7
                                        ; implicit-def: $vgpr6
                                        ; implicit-def: $vgpr2_vgpr3
	v_cmpx_ne_u32_e32 0, v62
	s_wait_alu 0xfffe
	s_xor_b32 s1, exec_lo, s1
	s_cbranch_execz .LBB0_18
; %bb.17:
	ds_load_b64 v[6:7], v0 offset:8624
	s_wait_dscnt 0x0
	v_dual_mov_b32 v63, v1 :: v_dual_add_f32 v8, v7, v5
	s_delay_alu instid0(VALU_DEP_1) | instskip(SKIP_2) | instid1(VALU_DEP_2)
	v_lshlrev_b64_e32 v[1:2], 3, v[62:63]
	v_dual_sub_f32 v3, v4, v6 :: v_dual_add_f32 v4, v6, v4
	v_sub_f32_e32 v5, v5, v7
	v_mul_f32_e32 v3, 0.5, v3
	s_delay_alu instid0(VALU_DEP_4)
	v_add_co_u32 v1, s0, s8, v1
	s_wait_alu 0xf1ff
	v_add_co_ci_u32_e64 v2, s0, s9, v2, s0
	global_load_b64 v[1:2], v[1:2], off offset:8608
	s_wait_loadcnt 0x0
	v_dual_mul_f32 v7, 0.5, v8 :: v_dual_mul_f32 v8, v2, v3
	s_delay_alu instid0(VALU_DEP_1) | instskip(SKIP_2) | instid1(VALU_DEP_3)
	v_fma_f32 v6, 0.5, v4, v8
	v_mul_f32_e32 v5, 0.5, v5
	v_fma_f32 v4, v4, 0.5, -v8
	v_fmac_f32_e32 v6, v1, v7
	s_delay_alu instid0(VALU_DEP_3) | instskip(SKIP_1) | instid1(VALU_DEP_4)
	v_fma_f32 v9, v7, v2, v5
	v_fma_f32 v2, v7, v2, -v5
	v_fma_f32 v7, -v1, v7, v4
	s_delay_alu instid0(VALU_DEP_3) | instskip(NEXT) | instid1(VALU_DEP_3)
	v_fma_f32 v5, -v1, v3, v9
	v_fma_f32 v8, -v1, v3, v2
	v_dual_mov_b32 v2, v62 :: v_dual_mov_b32 v3, v63
	ds_store_b32 v78, v5 offset:4
	ds_store_b32 v0, v8 offset:8628
                                        ; implicit-def: $vgpr4_vgpr5
.LBB0_18:
	s_wait_alu 0xfffe
	s_and_not1_saveexec_b32 s0, s1
	s_cbranch_execz .LBB0_20
; %bb.19:
	s_wait_dscnt 0x0
	v_dual_mov_b32 v1, 0 :: v_dual_add_f32 v6, v4, v5
	v_dual_mov_b32 v2, 0 :: v_dual_sub_f32 v7, v4, v5
	v_mov_b32_e32 v3, 0
	ds_store_b32 v78, v1 offset:4
	ds_store_b32 v0, v1 offset:8628
	ds_load_b32 v1, v77 offset:4316
	s_wait_dscnt 0x0
	v_xor_b32_e32 v1, 0x80000000, v1
	ds_store_b32 v77, v1 offset:4316
.LBB0_20:
	s_wait_alu 0xfffe
	s_or_b32 exec_lo, exec_lo, s0
	v_mov_b32_e32 v65, 0
	v_lshlrev_b64_e32 v[1:2], 3, v[2:3]
	v_lshl_add_u32 v3, v64, 3, v77
	s_wait_dscnt 0x0
	s_delay_alu instid0(VALU_DEP_3) | instskip(SKIP_3) | instid1(VALU_DEP_3)
	v_lshlrev_b64_e32 v[4:5], 3, v[64:65]
	v_mov_b32_e32 v73, v65
	v_mov_b32_e32 v71, v65
	;; [unrolled: 1-line block ×3, first 2 shown]
	v_lshlrev_b64_e32 v[8:9], 3, v[72:73]
	v_add_co_u32 v4, s0, s8, v4
	s_wait_alu 0xf1ff
	v_add_co_ci_u32_e64 v5, s0, s9, v5, s0
	v_lshlrev_b64_e32 v[12:13], 3, v[70:71]
	s_delay_alu instid0(VALU_DEP_4)
	v_add_co_u32 v8, s0, s8, v8
	global_load_b64 v[4:5], v[4:5], off offset:8608
	s_wait_alu 0xf1ff
	v_add_co_ci_u32_e64 v9, s0, s9, v9, s0
	s_add_nc_u64 s[0:1], s[8:9], 0x21a0
	v_lshlrev_b64_e32 v[14:15], 3, v[68:69]
	s_wait_alu 0xfffe
	v_add_co_u32 v1, s0, s0, v1
	global_load_b64 v[8:9], v[8:9], off offset:8608
	s_wait_alu 0xf1ff
	v_add_co_ci_u32_e64 v2, s0, s1, v2, s0
	v_add_co_u32 v12, s0, s8, v12
	s_wait_alu 0xf1ff
	v_add_co_ci_u32_e64 v13, s0, s9, v13, s0
	s_clause 0x2
	global_load_b64 v[10:11], v[1:2], off offset:1848
	global_load_b64 v[12:13], v[12:13], off offset:8608
	;; [unrolled: 1-line block ×3, first 2 shown]
	v_add_co_u32 v14, s0, s8, v14
	s_wait_alu 0xf1ff
	v_add_co_ci_u32_e64 v15, s0, s9, v15, s0
	global_load_b64 v[14:15], v[14:15], off offset:8608
	ds_store_b32 v78, v6
	ds_store_b32 v0, v7 offset:8624
	ds_load_b64 v[6:7], v3
	ds_load_b64 v[16:17], v0 offset:8008
	s_wait_dscnt 0x0
	v_dual_sub_f32 v18, v6, v16 :: v_dual_add_f32 v19, v7, v17
	v_dual_sub_f32 v7, v7, v17 :: v_dual_add_f32 v6, v6, v16
	s_delay_alu instid0(VALU_DEP_2) | instskip(SKIP_1) | instid1(VALU_DEP_1)
	v_dual_mul_f32 v17, 0.5, v18 :: v_dual_mul_f32 v18, 0.5, v19
	s_wait_loadcnt 0x5
	v_dual_mul_f32 v7, 0.5, v7 :: v_dual_mul_f32 v16, v5, v17
	s_delay_alu instid0(VALU_DEP_1) | instskip(SKIP_1) | instid1(VALU_DEP_3)
	v_fma_f32 v19, v18, v5, v7
	v_fma_f32 v5, v18, v5, -v7
	v_fma_f32 v7, 0.5, v6, v16
	v_fma_f32 v6, v6, 0.5, -v16
	s_delay_alu instid0(VALU_DEP_4) | instskip(NEXT) | instid1(VALU_DEP_4)
	v_fma_f32 v16, -v4, v17, v19
	v_fma_f32 v5, -v4, v17, v5
	v_lshl_add_u32 v17, v72, 3, v77
	v_fmac_f32_e32 v7, v4, v18
	v_fma_f32 v4, -v4, v18, v6
	ds_store_2addr_b32 v3, v7, v16 offset1:1
	ds_store_b64 v0, v[4:5] offset:8008
	ds_load_b64 v[3:4], v17
	ds_load_b64 v[5:6], v0 offset:7392
	s_wait_dscnt 0x0
	v_dual_sub_f32 v7, v3, v5 :: v_dual_add_f32 v16, v4, v6
	v_dual_sub_f32 v4, v4, v6 :: v_dual_add_f32 v3, v3, v5
	s_delay_alu instid0(VALU_DEP_2) | instskip(SKIP_1) | instid1(VALU_DEP_1)
	v_dual_mul_f32 v6, 0.5, v7 :: v_dual_mul_f32 v7, 0.5, v16
	s_wait_loadcnt 0x4
	v_dual_mul_f32 v4, 0.5, v4 :: v_dual_mul_f32 v5, v9, v6
	s_delay_alu instid0(VALU_DEP_1) | instskip(SKIP_1) | instid1(VALU_DEP_3)
	v_fma_f32 v16, v7, v9, v4
	v_fma_f32 v4, v7, v9, -v4
	v_fma_f32 v9, 0.5, v3, v5
	v_fma_f32 v3, v3, 0.5, -v5
	s_delay_alu instid0(VALU_DEP_4) | instskip(NEXT) | instid1(VALU_DEP_4)
	v_fma_f32 v5, -v8, v6, v16
	v_fma_f32 v4, -v8, v6, v4
	s_delay_alu instid0(VALU_DEP_4) | instskip(NEXT) | instid1(VALU_DEP_4)
	v_fmac_f32_e32 v9, v8, v7
	v_fma_f32 v3, -v8, v7, v3
	ds_store_2addr_b32 v17, v9, v5 offset1:1
	ds_store_b64 v0, v[3:4] offset:7392
	ds_load_b64 v[3:4], v78 offset:1848
	ds_load_b64 v[5:6], v0 offset:6776
	s_wait_dscnt 0x0
	v_dual_sub_f32 v7, v3, v5 :: v_dual_add_f32 v8, v4, v6
	v_dual_sub_f32 v4, v4, v6 :: v_dual_add_f32 v3, v3, v5
	s_delay_alu instid0(VALU_DEP_2) | instskip(SKIP_1) | instid1(VALU_DEP_1)
	v_dual_mul_f32 v6, 0.5, v7 :: v_dual_mul_f32 v7, 0.5, v8
	s_wait_loadcnt 0x3
	v_dual_mul_f32 v4, 0.5, v4 :: v_dual_mul_f32 v5, v11, v6
	s_delay_alu instid0(VALU_DEP_1) | instskip(SKIP_1) | instid1(VALU_DEP_3)
	v_fma_f32 v8, v7, v11, v4
	v_fma_f32 v4, v7, v11, -v4
	v_fma_f32 v9, 0.5, v3, v5
	v_fma_f32 v3, v3, 0.5, -v5
	v_add_nc_u32_e32 v5, 0x400, v78
	v_fma_f32 v8, -v10, v6, v8
	v_fma_f32 v4, -v10, v6, v4
	v_fmac_f32_e32 v9, v10, v7
	v_fma_f32 v3, -v10, v7, v3
	v_lshl_add_u32 v7, v70, 3, v77
	ds_store_2addr_b32 v5, v9, v8 offset0:206 offset1:207
	ds_store_b64 v0, v[3:4] offset:6776
	ds_load_b64 v[3:4], v7
	ds_load_b64 v[5:6], v0 offset:6160
	s_wait_dscnt 0x0
	v_dual_sub_f32 v8, v3, v5 :: v_dual_add_f32 v9, v4, v6
	v_dual_sub_f32 v4, v4, v6 :: v_dual_add_f32 v3, v3, v5
	s_delay_alu instid0(VALU_DEP_2) | instskip(NEXT) | instid1(VALU_DEP_3)
	v_mul_f32_e32 v6, 0.5, v8
	v_mul_f32_e32 v8, 0.5, v9
	s_wait_loadcnt 0x2
	s_delay_alu instid0(VALU_DEP_2) | instskip(NEXT) | instid1(VALU_DEP_1)
	v_dual_mul_f32 v4, 0.5, v4 :: v_dual_mul_f32 v5, v13, v6
	v_fma_f32 v9, v8, v13, v4
	v_fma_f32 v4, v8, v13, -v4
	s_delay_alu instid0(VALU_DEP_3) | instskip(SKIP_1) | instid1(VALU_DEP_4)
	v_fma_f32 v10, 0.5, v3, v5
	v_fma_f32 v3, v3, 0.5, -v5
	v_fma_f32 v5, -v12, v6, v9
	s_delay_alu instid0(VALU_DEP_4) | instskip(NEXT) | instid1(VALU_DEP_4)
	v_fma_f32 v4, -v12, v6, v4
	v_fmac_f32_e32 v10, v12, v8
	s_delay_alu instid0(VALU_DEP_4)
	v_fma_f32 v3, -v12, v8, v3
	ds_store_2addr_b32 v7, v10, v5 offset1:1
	ds_store_b64 v0, v[3:4] offset:6160
	ds_load_b64 v[3:4], v78 offset:3080
	ds_load_b64 v[5:6], v0 offset:5544
	s_wait_dscnt 0x0
	v_dual_sub_f32 v7, v3, v5 :: v_dual_add_f32 v8, v4, v6
	v_sub_f32_e32 v4, v4, v6
	s_delay_alu instid0(VALU_DEP_2) | instskip(NEXT) | instid1(VALU_DEP_2)
	v_dual_mul_f32 v6, 0.5, v7 :: v_dual_mul_f32 v7, 0.5, v8
	v_dual_mul_f32 v4, 0.5, v4 :: v_dual_add_f32 v3, v3, v5
	s_wait_loadcnt 0x1
	s_delay_alu instid0(VALU_DEP_2) | instskip(NEXT) | instid1(VALU_DEP_2)
	v_mul_f32_e32 v5, v2, v6
	v_fma_f32 v8, v7, v2, v4
	v_fma_f32 v2, v7, v2, -v4
	s_delay_alu instid0(VALU_DEP_3) | instskip(NEXT) | instid1(VALU_DEP_3)
	v_fma_f32 v4, 0.5, v3, v5
	v_fma_f32 v8, -v1, v6, v8
	s_delay_alu instid0(VALU_DEP_3) | instskip(SKIP_1) | instid1(VALU_DEP_4)
	v_fma_f32 v2, -v1, v6, v2
	v_lshl_add_u32 v6, v68, 3, v77
	v_fmac_f32_e32 v4, v1, v7
	v_fma_f32 v3, v3, 0.5, -v5
	v_add_nc_u32_e32 v5, 0xc00, v78
	s_delay_alu instid0(VALU_DEP_2)
	v_fma_f32 v1, -v1, v7, v3
	ds_store_2addr_b32 v5, v4, v8 offset0:2 offset1:3
	ds_store_b64 v0, v[1:2] offset:5544
	ds_load_b64 v[1:2], v6
	ds_load_b64 v[3:4], v0 offset:4928
	s_wait_dscnt 0x0
	v_sub_f32_e32 v5, v1, v3
	v_add_f32_e32 v7, v2, v4
	v_sub_f32_e32 v2, v2, v4
	s_delay_alu instid0(VALU_DEP_2) | instskip(NEXT) | instid1(VALU_DEP_2)
	v_dual_mul_f32 v4, 0.5, v5 :: v_dual_mul_f32 v5, 0.5, v7
	v_dual_add_f32 v1, v1, v3 :: v_dual_mul_f32 v2, 0.5, v2
	s_wait_loadcnt 0x0
	s_delay_alu instid0(VALU_DEP_2) | instskip(NEXT) | instid1(VALU_DEP_2)
	v_mul_f32_e32 v3, v15, v4
	v_fma_f32 v7, v5, v15, v2
	v_fma_f32 v2, v5, v15, -v2
	s_delay_alu instid0(VALU_DEP_3) | instskip(NEXT) | instid1(VALU_DEP_2)
	v_fma_f32 v8, 0.5, v1, v3
	v_fma_f32 v2, -v14, v4, v2
	s_delay_alu instid0(VALU_DEP_2) | instskip(SKIP_2) | instid1(VALU_DEP_2)
	v_fmac_f32_e32 v8, v14, v5
	v_fma_f32 v1, v1, 0.5, -v3
	v_fma_f32 v3, -v14, v4, v7
	v_fma_f32 v1, -v14, v5, v1
	ds_store_2addr_b32 v6, v8, v3 offset1:1
	ds_store_b64 v0, v[1:2] offset:4928
	global_wb scope:SCOPE_SE
	s_wait_dscnt 0x0
	s_barrier_signal -1
	s_barrier_wait -1
	global_inv scope:SCOPE_SE
	s_and_saveexec_b32 s0, vcc_lo
	s_cbranch_execz .LBB0_23
; %bb.21:
	v_mul_lo_u32 v3, s3, v66
	v_mul_lo_u32 v4, s2, v67
	v_mad_co_u64_u32 v[0:1], null, s2, v66, 0
	v_dual_mov_b32 v63, v65 :: v_dual_add_nc_u32 v64, 0x4d, v62
	v_lshlrev_b64_e32 v[11:12], 3, v[60:61]
	v_lshl_add_u32 v2, v62, 3, v77
	s_delay_alu instid0(VALU_DEP_3)
	v_lshlrev_b64_e32 v[13:14], 3, v[62:63]
	v_add3_u32 v1, v1, v4, v3
	v_lshlrev_b64_e32 v[15:16], 3, v[64:65]
	ds_load_2addr_b64 v[3:6], v2 offset1:77
	v_add_nc_u32_e32 v64, 0x9a, v62
	ds_load_2addr_b64 v[7:10], v2 offset0:154 offset1:231
	v_lshlrev_b64_e32 v[0:1], 3, v[0:1]
	v_add_nc_u32_e32 v21, 0x800, v2
	v_lshlrev_b64_e32 v[17:18], 3, v[64:65]
	v_add_nc_u32_e32 v64, 0xe7, v62
	s_delay_alu instid0(VALU_DEP_4) | instskip(SKIP_2) | instid1(VALU_DEP_2)
	v_add_co_u32 v0, vcc_lo, s6, v0
	s_wait_alu 0xfffd
	v_add_co_ci_u32_e32 v1, vcc_lo, s7, v1, vcc_lo
	v_add_co_u32 v0, vcc_lo, v0, v11
	s_wait_alu 0xfffd
	s_delay_alu instid0(VALU_DEP_2) | instskip(NEXT) | instid1(VALU_DEP_2)
	v_add_co_ci_u32_e32 v1, vcc_lo, v1, v12, vcc_lo
	v_add_co_u32 v11, vcc_lo, v0, v13
	s_wait_alu 0xfffd
	s_delay_alu instid0(VALU_DEP_2)
	v_add_co_ci_u32_e32 v12, vcc_lo, v1, v14, vcc_lo
	v_add_co_u32 v13, vcc_lo, v0, v15
	s_wait_alu 0xfffd
	v_add_co_ci_u32_e32 v14, vcc_lo, v1, v16, vcc_lo
	v_lshlrev_b64_e32 v[15:16], 3, v[64:65]
	v_add_co_u32 v17, vcc_lo, v0, v17
	v_add_nc_u32_e32 v64, 0x134, v62
	s_wait_alu 0xfffd
	v_add_co_ci_u32_e32 v18, vcc_lo, v1, v18, vcc_lo
	s_delay_alu instid0(VALU_DEP_4)
	v_add_co_u32 v15, vcc_lo, v0, v15
	s_wait_alu 0xfffd
	v_add_co_ci_u32_e32 v16, vcc_lo, v1, v16, vcc_lo
	v_lshlrev_b64_e32 v[19:20], 3, v[64:65]
	v_add_nc_u32_e32 v64, 0x181, v62
	s_wait_dscnt 0x1
	s_clause 0x1
	global_store_b64 v[11:12], v[3:4], off
	global_store_b64 v[13:14], v[5:6], off
	s_wait_dscnt 0x0
	s_clause 0x1
	global_store_b64 v[17:18], v[7:8], off
	global_store_b64 v[15:16], v[9:10], off
	v_add_nc_u32_e32 v7, 0xc00, v2
	ds_load_2addr_b64 v[3:6], v21 offset0:52 offset1:129
	v_add_nc_u32_e32 v21, 0x1000, v2
	v_lshlrev_b64_e32 v[11:12], 3, v[64:65]
	v_add_nc_u32_e32 v64, 0x1ce, v62
	ds_load_2addr_b64 v[7:10], v7 offset0:78 offset1:155
	v_add_co_u32 v13, vcc_lo, v0, v19
	s_wait_alu 0xfffd
	v_add_co_ci_u32_e32 v14, vcc_lo, v1, v20, vcc_lo
	v_lshlrev_b64_e32 v[15:16], 3, v[64:65]
	v_add_nc_u32_e32 v64, 0x21b, v62
	v_add_co_u32 v11, vcc_lo, v0, v11
	s_wait_alu 0xfffd
	v_add_co_ci_u32_e32 v12, vcc_lo, v1, v12, vcc_lo
	s_delay_alu instid0(VALU_DEP_3) | instskip(SKIP_4) | instid1(VALU_DEP_3)
	v_lshlrev_b64_e32 v[17:18], 3, v[64:65]
	v_add_nc_u32_e32 v64, 0x268, v62
	v_add_co_u32 v15, vcc_lo, v0, v15
	s_wait_alu 0xfffd
	v_add_co_ci_u32_e32 v16, vcc_lo, v1, v16, vcc_lo
	v_lshlrev_b64_e32 v[19:20], 3, v[64:65]
	v_add_nc_u32_e32 v64, 0x2b5, v62
	v_add_co_u32 v17, vcc_lo, v0, v17
	s_wait_alu 0xfffd
	v_add_co_ci_u32_e32 v18, vcc_lo, v1, v18, vcc_lo
	s_wait_dscnt 0x1
	s_clause 0x1
	global_store_b64 v[13:14], v[3:4], off
	global_store_b64 v[11:12], v[5:6], off
	s_wait_dscnt 0x0
	s_clause 0x1
	global_store_b64 v[15:16], v[7:8], off
	global_store_b64 v[17:18], v[9:10], off
	v_lshlrev_b64_e32 v[7:8], 3, v[64:65]
	v_add_nc_u32_e32 v64, 0x302, v62
	v_add_co_u32 v15, vcc_lo, v0, v19
	s_wait_alu 0xfffd
	v_add_co_ci_u32_e32 v16, vcc_lo, v1, v20, vcc_lo
	s_delay_alu instid0(VALU_DEP_3)
	v_lshlrev_b64_e32 v[11:12], 3, v[64:65]
	v_add_nc_u32_e32 v64, 0x34f, v62
	v_add_nc_u32_e32 v13, 0x1800, v2
	v_add_co_u32 v17, vcc_lo, v0, v7
	ds_load_2addr_b64 v[3:6], v21 offset0:104 offset1:181
	v_lshlrev_b64_e32 v[19:20], 3, v[64:65]
	v_add_nc_u32_e32 v64, 0x39c, v62
	s_wait_alu 0xfffd
	v_add_co_ci_u32_e32 v18, vcc_lo, v1, v8, vcc_lo
	ds_load_2addr_b64 v[7:10], v13 offset0:2 offset1:79
	v_add_co_u32 v21, vcc_lo, v0, v11
	v_lshlrev_b64_e32 v[23:24], 3, v[64:65]
	v_add_nc_u32_e32 v64, 0x3e9, v62
	s_wait_alu 0xfffd
	v_add_co_ci_u32_e32 v22, vcc_lo, v1, v12, vcc_lo
	ds_load_2addr_b64 v[11:14], v13 offset0:156 offset1:233
	v_add_co_u32 v19, vcc_lo, v0, v19
	v_lshlrev_b64_e32 v[25:26], 3, v[64:65]
	s_wait_alu 0xfffd
	v_add_co_ci_u32_e32 v20, vcc_lo, v1, v20, vcc_lo
	v_add_co_u32 v23, vcc_lo, v0, v23
	s_wait_alu 0xfffd
	v_add_co_ci_u32_e32 v24, vcc_lo, v1, v24, vcc_lo
	v_add_co_u32 v25, vcc_lo, v0, v25
	s_wait_alu 0xfffd
	v_add_co_ci_u32_e32 v26, vcc_lo, v1, v26, vcc_lo
	v_cmp_eq_u32_e32 vcc_lo, 0x4c, v62
	s_wait_dscnt 0x2
	s_clause 0x1
	global_store_b64 v[15:16], v[3:4], off
	global_store_b64 v[17:18], v[5:6], off
	s_wait_dscnt 0x1
	s_clause 0x1
	global_store_b64 v[21:22], v[7:8], off
	global_store_b64 v[19:20], v[9:10], off
	;; [unrolled: 4-line block ×3, first 2 shown]
	s_and_b32 exec_lo, exec_lo, vcc_lo
	s_cbranch_execz .LBB0_23
; %bb.22:
	ds_load_b64 v[2:3], v2 offset:8016
	s_wait_dscnt 0x0
	global_store_b64 v[0:1], v[2:3], off offset:8624
.LBB0_23:
	s_nop 0
	s_sendmsg sendmsg(MSG_DEALLOC_VGPRS)
	s_endpgm
	.section	.rodata,"a",@progbits
	.p2align	6, 0x0
	.amdhsa_kernel fft_rtc_back_len1078_factors_2_11_7_7_wgs_231_tpt_77_halfLds_sp_op_CI_CI_unitstride_sbrr_R2C_dirReg
		.amdhsa_group_segment_fixed_size 0
		.amdhsa_private_segment_fixed_size 0
		.amdhsa_kernarg_size 104
		.amdhsa_user_sgpr_count 2
		.amdhsa_user_sgpr_dispatch_ptr 0
		.amdhsa_user_sgpr_queue_ptr 0
		.amdhsa_user_sgpr_kernarg_segment_ptr 1
		.amdhsa_user_sgpr_dispatch_id 0
		.amdhsa_user_sgpr_private_segment_size 0
		.amdhsa_wavefront_size32 1
		.amdhsa_uses_dynamic_stack 0
		.amdhsa_enable_private_segment 0
		.amdhsa_system_sgpr_workgroup_id_x 1
		.amdhsa_system_sgpr_workgroup_id_y 0
		.amdhsa_system_sgpr_workgroup_id_z 0
		.amdhsa_system_sgpr_workgroup_info 0
		.amdhsa_system_vgpr_workitem_id 0
		.amdhsa_next_free_vgpr 157
		.amdhsa_next_free_sgpr 39
		.amdhsa_reserve_vcc 1
		.amdhsa_float_round_mode_32 0
		.amdhsa_float_round_mode_16_64 0
		.amdhsa_float_denorm_mode_32 3
		.amdhsa_float_denorm_mode_16_64 3
		.amdhsa_fp16_overflow 0
		.amdhsa_workgroup_processor_mode 1
		.amdhsa_memory_ordered 1
		.amdhsa_forward_progress 0
		.amdhsa_round_robin_scheduling 0
		.amdhsa_exception_fp_ieee_invalid_op 0
		.amdhsa_exception_fp_denorm_src 0
		.amdhsa_exception_fp_ieee_div_zero 0
		.amdhsa_exception_fp_ieee_overflow 0
		.amdhsa_exception_fp_ieee_underflow 0
		.amdhsa_exception_fp_ieee_inexact 0
		.amdhsa_exception_int_div_zero 0
	.end_amdhsa_kernel
	.text
.Lfunc_end0:
	.size	fft_rtc_back_len1078_factors_2_11_7_7_wgs_231_tpt_77_halfLds_sp_op_CI_CI_unitstride_sbrr_R2C_dirReg, .Lfunc_end0-fft_rtc_back_len1078_factors_2_11_7_7_wgs_231_tpt_77_halfLds_sp_op_CI_CI_unitstride_sbrr_R2C_dirReg
                                        ; -- End function
	.section	.AMDGPU.csdata,"",@progbits
; Kernel info:
; codeLenInByte = 12848
; NumSgprs: 41
; NumVgprs: 157
; ScratchSize: 0
; MemoryBound: 0
; FloatMode: 240
; IeeeMode: 1
; LDSByteSize: 0 bytes/workgroup (compile time only)
; SGPRBlocks: 5
; VGPRBlocks: 19
; NumSGPRsForWavesPerEU: 41
; NumVGPRsForWavesPerEU: 157
; Occupancy: 9
; WaveLimiterHint : 1
; COMPUTE_PGM_RSRC2:SCRATCH_EN: 0
; COMPUTE_PGM_RSRC2:USER_SGPR: 2
; COMPUTE_PGM_RSRC2:TRAP_HANDLER: 0
; COMPUTE_PGM_RSRC2:TGID_X_EN: 1
; COMPUTE_PGM_RSRC2:TGID_Y_EN: 0
; COMPUTE_PGM_RSRC2:TGID_Z_EN: 0
; COMPUTE_PGM_RSRC2:TIDIG_COMP_CNT: 0
	.text
	.p2alignl 7, 3214868480
	.fill 96, 4, 3214868480
	.type	__hip_cuid_a1a8fa0f47e19ed0,@object ; @__hip_cuid_a1a8fa0f47e19ed0
	.section	.bss,"aw",@nobits
	.globl	__hip_cuid_a1a8fa0f47e19ed0
__hip_cuid_a1a8fa0f47e19ed0:
	.byte	0                               ; 0x0
	.size	__hip_cuid_a1a8fa0f47e19ed0, 1

	.ident	"AMD clang version 19.0.0git (https://github.com/RadeonOpenCompute/llvm-project roc-6.4.0 25133 c7fe45cf4b819c5991fe208aaa96edf142730f1d)"
	.section	".note.GNU-stack","",@progbits
	.addrsig
	.addrsig_sym __hip_cuid_a1a8fa0f47e19ed0
	.amdgpu_metadata
---
amdhsa.kernels:
  - .args:
      - .actual_access:  read_only
        .address_space:  global
        .offset:         0
        .size:           8
        .value_kind:     global_buffer
      - .offset:         8
        .size:           8
        .value_kind:     by_value
      - .actual_access:  read_only
        .address_space:  global
        .offset:         16
        .size:           8
        .value_kind:     global_buffer
      - .actual_access:  read_only
        .address_space:  global
        .offset:         24
        .size:           8
        .value_kind:     global_buffer
      - .actual_access:  read_only
        .address_space:  global
        .offset:         32
        .size:           8
        .value_kind:     global_buffer
      - .offset:         40
        .size:           8
        .value_kind:     by_value
      - .actual_access:  read_only
        .address_space:  global
        .offset:         48
        .size:           8
        .value_kind:     global_buffer
      - .actual_access:  read_only
        .address_space:  global
        .offset:         56
        .size:           8
        .value_kind:     global_buffer
      - .offset:         64
        .size:           4
        .value_kind:     by_value
      - .actual_access:  read_only
        .address_space:  global
        .offset:         72
        .size:           8
        .value_kind:     global_buffer
      - .actual_access:  read_only
        .address_space:  global
        .offset:         80
        .size:           8
        .value_kind:     global_buffer
      - .actual_access:  read_only
        .address_space:  global
        .offset:         88
        .size:           8
        .value_kind:     global_buffer
      - .actual_access:  write_only
        .address_space:  global
        .offset:         96
        .size:           8
        .value_kind:     global_buffer
    .group_segment_fixed_size: 0
    .kernarg_segment_align: 8
    .kernarg_segment_size: 104
    .language:       OpenCL C
    .language_version:
      - 2
      - 0
    .max_flat_workgroup_size: 231
    .name:           fft_rtc_back_len1078_factors_2_11_7_7_wgs_231_tpt_77_halfLds_sp_op_CI_CI_unitstride_sbrr_R2C_dirReg
    .private_segment_fixed_size: 0
    .sgpr_count:     41
    .sgpr_spill_count: 0
    .symbol:         fft_rtc_back_len1078_factors_2_11_7_7_wgs_231_tpt_77_halfLds_sp_op_CI_CI_unitstride_sbrr_R2C_dirReg.kd
    .uniform_work_group_size: 1
    .uses_dynamic_stack: false
    .vgpr_count:     157
    .vgpr_spill_count: 0
    .wavefront_size: 32
    .workgroup_processor_mode: 1
amdhsa.target:   amdgcn-amd-amdhsa--gfx1201
amdhsa.version:
  - 1
  - 2
...

	.end_amdgpu_metadata
